;; amdgpu-corpus repo=ROCm/rocFFT kind=compiled arch=gfx1030 opt=O3
	.text
	.amdgcn_target "amdgcn-amd-amdhsa--gfx1030"
	.amdhsa_code_object_version 6
	.protected	bluestein_single_back_len374_dim1_dp_op_CI_CI ; -- Begin function bluestein_single_back_len374_dim1_dp_op_CI_CI
	.globl	bluestein_single_back_len374_dim1_dp_op_CI_CI
	.p2align	8
	.type	bluestein_single_back_len374_dim1_dp_op_CI_CI,@function
bluestein_single_back_len374_dim1_dp_op_CI_CI: ; @bluestein_single_back_len374_dim1_dp_op_CI_CI
; %bb.0:
	s_mov_b64 s[62:63], s[2:3]
	s_mov_b64 s[60:61], s[0:1]
	s_load_dwordx4 s[0:3], s[4:5], 0x28
	v_mul_u32_u24_e32 v1, 0x788, v0
	s_add_u32 s60, s60, s7
	s_addc_u32 s61, s61, 0
	v_lshrrev_b32_e32 v1, 16, v1
	v_mad_u64_u32 v[4:5], null, s6, 7, v[1:2]
	v_mov_b32_e32 v5, 0
                                        ; kill: def $vgpr2 killed $sgpr0 killed $exec
	s_waitcnt lgkmcnt(0)
	v_cmp_gt_u64_e32 vcc_lo, s[0:1], v[4:5]
	s_and_saveexec_b32 s0, vcc_lo
	s_cbranch_execz .LBB0_23
; %bb.1:
	v_mul_hi_u32 v2, 0x24924925, v4
	v_mul_lo_u16 v1, v1, 34
	s_clause 0x1
	s_load_dwordx2 s[12:13], s[4:5], 0x0
	s_load_dwordx2 s[14:15], s[4:5], 0x38
	v_sub_nc_u16 v0, v0, v1
	v_mov_b32_e32 v1, v4
	v_sub_nc_u32_e32 v3, v4, v2
	v_and_b32_e32 v155, 0xffff, v0
	v_cmp_gt_u16_e32 vcc_lo, 22, v0
	v_lshrrev_b32_e32 v3, 1, v3
	v_add_nc_u32_e32 v2, v3, v2
	v_lshrrev_b32_e32 v2, 2, v2
	v_mul_lo_u32 v2, v2, 7
	buffer_store_dword v1, off, s[60:63], 0 offset:52 ; 4-byte Folded Spill
	buffer_store_dword v2, off, s[60:63], 0 offset:56 ; 4-byte Folded Spill
	v_sub_nc_u32_e32 v1, v4, v2
	v_mul_u32_u24_e32 v189, 0x176, v1
	v_lshlrev_b32_e32 v0, 4, v189
	buffer_store_dword v0, off, s[60:63], 0 offset:32 ; 4-byte Folded Spill
	v_or_b32_e32 v0, 0x160, v155
	buffer_store_dword v0, off, s[60:63], 0 offset:192 ; 4-byte Folded Spill
	s_and_saveexec_b32 s1, vcc_lo
	s_cbranch_execz .LBB0_3
; %bb.2:
	s_load_dwordx2 s[6:7], s[4:5], 0x18
	v_lshlrev_b32_e32 v153, 4, v155
	v_or_b32_e32 v68, 0x160, v155
	s_waitcnt lgkmcnt(0)
	v_add_co_u32 v20, s0, s12, v153
	v_add_co_ci_u32_e64 v21, null, s13, 0, s0
	v_lshlrev_b32_e32 v24, 4, v68
	v_add_co_u32 v48, s0, 0x800, v20
	v_add_co_ci_u32_e64 v49, s0, 0, v21, s0
	v_add_co_u32 v128, s0, 0x1000, v20
	v_add_co_ci_u32_e64 v129, s0, 0, v21, s0
	s_load_dwordx4 s[8:11], s[6:7], 0x0
	s_clause 0x4
	global_load_dwordx4 v[0:3], v153, s[12:13] offset:352
	global_load_dwordx4 v[4:7], v153, s[12:13] offset:704
	;; [unrolled: 1-line block ×5, first 2 shown]
	s_clause 0x1
	buffer_load_dword v22, off, s[60:63], 0 offset:52
	buffer_load_dword v23, off, s[60:63], 0 offset:56
	s_waitcnt lgkmcnt(0)
	v_mad_u64_u32 v[62:63], null, s8, v155, 0
	s_mul_i32 s6, s9, 0x160
	s_mul_hi_u32 s7, s8, 0x160
	s_add_i32 s7, s7, s6
	v_mov_b32_e32 v45, v63
	s_waitcnt vmcnt(1)
	v_mov_b32_e32 v46, v22
	s_clause 0x5
	global_load_dwordx4 v[20:23], v153, s[12:13]
	global_load_dwordx4 v[24:27], v24, s[12:13]
	global_load_dwordx4 v[28:31], v[48:49], off offset:64
	global_load_dwordx4 v[32:35], v[48:49], off offset:416
	;; [unrolled: 1-line block ×4, first 2 shown]
	v_mad_u64_u32 v[60:61], null, s10, v46, 0
	v_mad_u64_u32 v[66:67], null, s9, v155, v[45:46]
	v_mov_b32_e32 v44, v61
	v_mad_u64_u32 v[63:64], null, s11, v46, v[44:45]
	v_mad_u64_u32 v[64:65], null, s8, v68, 0
	s_mulk_i32 s8, 0x160
	s_clause 0x3
	global_load_dwordx4 v[44:47], v[48:49], off offset:1472
	global_load_dwordx4 v[48:51], v[48:49], off offset:1824
	;; [unrolled: 1-line block ×4, first 2 shown]
	v_mov_b32_e32 v61, v63
	v_mov_b32_e32 v63, v66
	v_mad_u64_u32 v[65:66], null, s9, v68, v[65:66]
	v_lshlrev_b64 v[60:61], 4, v[60:61]
	v_lshlrev_b64 v[62:63], 4, v[62:63]
	v_add_co_u32 v70, s0, s2, v60
	v_add_co_ci_u32_e64 v71, s0, s3, v61, s0
	v_lshlrev_b64 v[60:61], 4, v[64:65]
	v_add_co_u32 v66, s0, v70, v62
	v_add_co_ci_u32_e64 v67, s0, v71, v63, s0
	v_add_co_u32 v68, s0, v66, s8
	v_add_co_ci_u32_e64 v69, s0, s7, v67, s0
	;; [unrolled: 2-line block ×5, first 2 shown]
	global_load_dwordx4 v[60:63], v[60:61], off
	v_add_co_u32 v80, s0, v76, s8
	v_add_co_ci_u32_e64 v81, s0, s7, v77, s0
	s_clause 0x1
	global_load_dwordx4 v[64:67], v[66:67], off
	global_load_dwordx4 v[68:71], v[68:69], off
	v_add_co_u32 v84, s0, v80, s8
	v_add_co_ci_u32_e64 v85, s0, s7, v81, s0
	s_clause 0x1
	global_load_dwordx4 v[72:75], v[72:73], off
	global_load_dwordx4 v[76:79], v[76:77], off
	v_add_co_u32 v88, s0, v84, s8
	v_add_co_ci_u32_e64 v89, s0, s7, v85, s0
	global_load_dwordx4 v[80:83], v[80:81], off
	v_add_co_u32 v92, s0, v88, s8
	v_add_co_ci_u32_e64 v93, s0, s7, v89, s0
	;; [unrolled: 3-line block ×10, first 2 shown]
	global_load_dwordx4 v[116:119], v[116:117], off
	global_load_dwordx4 v[120:123], v[120:121], off
	s_clause 0x1
	global_load_dwordx4 v[124:127], v[128:129], off offset:832
	global_load_dwordx4 v[128:131], v[128:129], off offset:1184
	global_load_dwordx4 v[132:135], v[132:133], off
	s_waitcnt vmcnt(18)
	v_mul_f64 v[138:139], v[62:63], v[26:27]
	v_mul_f64 v[151:152], v[60:61], v[26:27]
	s_waitcnt vmcnt(17)
	v_mul_f64 v[136:137], v[66:67], v[22:23]
	v_mul_f64 v[22:23], v[64:65], v[22:23]
	;; [unrolled: 3-line block ×6, first 2 shown]
	s_waitcnt vmcnt(12)
	v_mul_f64 v[26:27], v[84:85], v[18:19]
	v_fma_f64 v[2:3], v[60:61], v[24:25], v[138:139]
	v_fma_f64 v[64:65], v[64:65], v[20:21], v[136:137]
	v_fma_f64 v[66:67], v[66:67], v[20:21], -v[22:23]
	v_mul_f64 v[22:23], v[86:87], v[18:19]
	v_fma_f64 v[18:19], v[68:69], v[0:1], v[141:142]
	v_fma_f64 v[20:21], v[70:71], v[0:1], -v[143:144]
	s_waitcnt vmcnt(11)
	v_mul_f64 v[0:1], v[90:91], v[30:31]
	v_mul_f64 v[30:31], v[88:89], v[30:31]
	v_fma_f64 v[68:69], v[72:73], v[4:5], v[145:146]
	v_fma_f64 v[70:71], v[74:75], v[4:5], -v[6:7]
	s_waitcnt vmcnt(10)
	v_mul_f64 v[4:5], v[94:95], v[34:35]
	v_mul_f64 v[34:35], v[92:93], v[34:35]
	s_waitcnt vmcnt(9)
	v_mul_f64 v[60:61], v[98:99], v[38:39]
	v_mul_f64 v[38:39], v[96:97], v[38:39]
	v_fma_f64 v[6:7], v[76:77], v[8:9], v[147:148]
	s_waitcnt vmcnt(8)
	v_mul_f64 v[72:73], v[102:103], v[42:43]
	v_mul_f64 v[42:43], v[100:101], v[42:43]
	v_fma_f64 v[8:9], v[78:79], v[8:9], -v[10:11]
	v_fma_f64 v[10:11], v[80:81], v[12:13], v[149:150]
	v_fma_f64 v[12:13], v[82:83], v[12:13], -v[14:15]
	s_waitcnt vmcnt(7)
	v_mul_f64 v[74:75], v[106:107], v[46:47]
	v_mul_f64 v[46:47], v[104:105], v[46:47]
	s_waitcnt vmcnt(6)
	v_mul_f64 v[76:77], v[110:111], v[50:51]
	v_mul_f64 v[50:51], v[108:109], v[50:51]
	v_fma_f64 v[14:15], v[84:85], v[16:17], v[22:23]
	v_fma_f64 v[16:17], v[86:87], v[16:17], -v[26:27]
	v_fma_f64 v[26:27], v[88:89], v[28:29], v[0:1]
	s_waitcnt vmcnt(5)
	v_mul_f64 v[78:79], v[114:115], v[54:55]
	v_mul_f64 v[54:55], v[112:113], v[54:55]
	s_waitcnt vmcnt(4)
	v_mul_f64 v[80:81], v[118:119], v[58:59]
	v_mul_f64 v[58:59], v[116:117], v[58:59]
	;; [unrolled: 3-line block ×4, first 2 shown]
	v_fma_f64 v[28:29], v[90:91], v[28:29], -v[30:31]
	v_fma_f64 v[30:31], v[92:93], v[32:33], v[4:5]
	v_fma_f64 v[32:33], v[94:95], v[32:33], -v[34:35]
	v_fma_f64 v[34:35], v[96:97], v[36:37], v[60:61]
	;; [unrolled: 2-line block ×5, first 2 shown]
	v_fma_f64 v[48:49], v[110:111], v[48:49], -v[50:51]
	v_lshlrev_b32_e32 v1, 4, v189
	v_fma_f64 v[4:5], v[62:63], v[24:25], -v[151:152]
	v_fma_f64 v[50:51], v[112:113], v[52:53], v[78:79]
	v_fma_f64 v[52:53], v[114:115], v[52:53], -v[54:55]
	v_fma_f64 v[54:55], v[116:117], v[56:57], v[80:81]
	;; [unrolled: 2-line block ×4, first 2 shown]
	v_fma_f64 v[74:75], v[134:135], v[128:129], -v[130:131]
	v_lshl_add_u32 v0, v155, 4, v1
	v_add_nc_u32_e32 v1, v1, v153
	ds_write_b128 v0, v[64:67]
	ds_write_b128 v1, v[18:21] offset:352
	ds_write_b128 v1, v[68:71] offset:704
	;; [unrolled: 1-line block ×16, first 2 shown]
.LBB0_3:
	s_or_b32 exec_lo, exec_lo, s1
	s_waitcnt lgkmcnt(0)
	s_waitcnt_vscnt null, 0x0
	s_barrier
	buffer_gl0_inv
                                        ; implicit-def: $vgpr32_vgpr33
                                        ; implicit-def: $vgpr48_vgpr49
                                        ; implicit-def: $vgpr52_vgpr53
                                        ; implicit-def: $vgpr60_vgpr61
                                        ; implicit-def: $vgpr64_vgpr65
                                        ; implicit-def: $vgpr68_vgpr69
                                        ; implicit-def: $vgpr72_vgpr73
                                        ; implicit-def: $vgpr76_vgpr77
                                        ; implicit-def: $vgpr80_vgpr81
                                        ; implicit-def: $vgpr84_vgpr85
                                        ; implicit-def: $vgpr88_vgpr89
                                        ; implicit-def: $vgpr92_vgpr93
                                        ; implicit-def: $vgpr56_vgpr57
                                        ; implicit-def: $vgpr44_vgpr45
                                        ; implicit-def: $vgpr40_vgpr41
                                        ; implicit-def: $vgpr36_vgpr37
                                        ; implicit-def: $vgpr20_vgpr21
	s_and_saveexec_b32 s0, vcc_lo
	s_cbranch_execz .LBB0_5
; %bb.4:
	v_lshlrev_b32_e32 v0, 4, v155
	v_lshl_add_u32 v0, v189, 4, v0
	ds_read_b128 v[32:35], v0
	ds_read_b128 v[48:51], v0 offset:352
	ds_read_b128 v[52:55], v0 offset:704
	;; [unrolled: 1-line block ×16, first 2 shown]
.LBB0_5:
	s_or_b32 exec_lo, exec_lo, s0
	s_waitcnt lgkmcnt(0)
	v_add_f64 v[122:123], v[50:51], -v[22:23]
	v_add_f64 v[130:131], v[48:49], -v[20:21]
	s_mov_b32 s10, 0x5d8e7cdc
	s_mov_b32 s11, 0xbfd71e95
	v_add_f64 v[96:97], v[54:55], -v[38:39]
	v_add_f64 v[98:99], v[52:53], -v[36:37]
	s_mov_b32 s20, 0x2a9d6da3
	s_mov_b32 s21, 0xbfe58eea
	;; [unrolled: 4-line block ×3, first 2 shown]
	v_add_f64 v[118:119], v[48:49], v[20:21]
	v_add_f64 v[126:127], v[50:51], v[22:23]
	s_mov_b32 s0, 0x370991
	s_mov_b32 s1, 0x3fedd6d0
	v_add_f64 v[102:103], v[52:53], v[36:37]
	v_add_f64 v[106:107], v[54:55], v[38:39]
	s_mov_b32 s8, 0x75d4884
	s_mov_b32 s9, 0x3fe7a5f6
	v_add_f64 v[124:125], v[62:63], v[42:43]
	s_mov_b32 s16, 0x2b2883cd
	v_mul_f64 v[0:1], v[122:123], s[10:11]
	v_mul_f64 v[2:3], v[130:131], s[10:11]
	s_mov_b32 s17, 0x3fdc86fa
	v_add_f64 v[110:111], v[66:67], -v[46:47]
	v_mul_f64 v[4:5], v[96:97], s[20:21]
	v_mul_f64 v[6:7], v[98:99], s[20:21]
	v_add_f64 v[183:184], v[64:65], -v[44:45]
	s_mov_b32 s36, 0xeb564b22
	v_mul_f64 v[8:9], v[100:101], s[22:23]
	v_mul_f64 v[12:13], v[132:133], s[22:23]
	s_mov_b32 s37, 0xbfefdd0d
	v_add_f64 v[138:139], v[66:67], v[46:47]
	s_mov_b32 s18, 0x3259b75e
	s_mov_b32 s19, 0x3fb79ee6
	v_add_f64 v[175:176], v[70:71], -v[58:59]
	s_mov_b32 s26, 0x923c349f
	s_mov_b32 s27, 0xbfeec746
	v_add_f64 v[116:117], v[60:61], v[40:41]
	v_add_f64 v[112:113], v[64:65], v[44:45]
	;; [unrolled: 1-line block ×3, first 2 shown]
	s_mov_b32 s24, 0xc61f0d01
	s_mov_b32 s25, 0xbfd183b1
	buffer_store_dword v0, off, s[60:63], 0 offset:144 ; 4-byte Folded Spill
	buffer_store_dword v1, off, s[60:63], 0 offset:148 ; 4-byte Folded Spill
	buffer_store_dword v2, off, s[60:63], 0 offset:160 ; 4-byte Folded Spill
	buffer_store_dword v3, off, s[60:63], 0 offset:164 ; 4-byte Folded Spill
	buffer_store_dword v4, off, s[60:63], 0 offset:64 ; 4-byte Folded Spill
	buffer_store_dword v5, off, s[60:63], 0 offset:68 ; 4-byte Folded Spill
	buffer_store_dword v6, off, s[60:63], 0 offset:80 ; 4-byte Folded Spill
	buffer_store_dword v7, off, s[60:63], 0 offset:84 ; 4-byte Folded Spill
	buffer_store_dword v8, off, s[60:63], 0 offset:112 ; 4-byte Folded Spill
	buffer_store_dword v9, off, s[60:63], 0 offset:116 ; 4-byte Folded Spill
	buffer_store_dword v12, off, s[60:63], 0 offset:128 ; 4-byte Folded Spill
	buffer_store_dword v13, off, s[60:63], 0 offset:132 ; 4-byte Folded Spill
	v_mul_f64 v[10:11], v[110:111], s[36:37]
	buffer_store_dword v10, off, s[60:63], 0 offset:96 ; 4-byte Folded Spill
	buffer_store_dword v11, off, s[60:63], 0 offset:100 ; 4-byte Folded Spill
	v_add_f64 v[227:228], v[68:69], -v[56:57]
	v_add_f64 v[161:162], v[70:71], v[58:59]
	v_add_f64 v[181:182], v[74:75], -v[94:95]
	s_mov_b32 s38, 0x6c9a05f6
	s_mov_b32 s39, 0xbfe9895b
	v_add_f64 v[153:154], v[72:73], v[92:93]
	s_mov_b32 s28, 0x6ed5f1bb
	s_mov_b32 s29, 0xbfe348c8
	v_add_f64 v[245:246], v[72:73], -v[92:93]
	v_add_f64 v[165:166], v[74:75], v[94:95]
	v_add_f64 v[151:152], v[78:79], -v[90:91]
	s_mov_b32 s40, 0x4363dd80
	s_mov_b32 s41, 0xbfe0d888
	v_add_f64 v[147:148], v[76:77], v[88:89]
	s_mov_b32 s30, 0x910ea3b9
	s_mov_b32 s31, 0xbfeb34fa
	;; [unrolled: 8-line block ×3, first 2 shown]
	v_add_f64 v[145:146], v[80:81], -v[84:85]
	v_add_f64 v[177:178], v[82:83], v[86:87]
	v_mul_f64 v[203:204], v[122:123], s[20:21]
	v_mul_f64 v[205:206], v[130:131], s[20:21]
	s_mov_b32 s51, 0x3fe0d888
	s_mov_b32 s50, s40
	;; [unrolled: 1-line block ×10, first 2 shown]
	v_mul_f64 v[223:224], v[122:123], s[22:23]
	v_mul_f64 v[231:232], v[130:131], s[22:23]
	s_mov_b32 s47, 0x3fe58eea
	s_mov_b32 s46, s20
	v_mul_f64 v[251:252], v[122:123], s[36:37]
	v_mul_f64 v[114:115], v[130:131], s[36:37]
	s_mov_b32 s57, 0x3fe9895b
	s_mov_b32 s56, s38
	;; [unrolled: 1-line block ×4, first 2 shown]
	v_mul_f64 v[163:164], v[122:123], s[26:27]
	v_mul_f64 v[167:168], v[130:131], s[26:27]
	;; [unrolled: 1-line block ×30, first 2 shown]
	v_fma_f64 v[26:27], v[102:103], s[24:25], v[207:208]
	v_mul_f64 v[128:129], v[183:184], s[56:57]
	v_fma_f64 v[28:29], v[106:107], s[24:25], -v[213:214]
	v_mul_f64 v[136:137], v[227:228], s[10:11]
	v_mul_f64 v[149:150], v[245:246], s[54:55]
	v_fma_f64 v[104:105], v[106:107], s[16:17], -v[249:250]
	v_fma_f64 v[0:1], v[118:119], s[0:1], v[0:1]
	v_fma_f64 v[2:3], v[126:127], s[0:1], -v[2:3]
	v_fma_f64 v[4:5], v[102:103], s[8:9], v[4:5]
	;; [unrolled: 2-line block ×3, first 2 shown]
	v_add_f64 v[0:1], v[32:33], v[0:1]
	v_add_f64 v[2:3], v[34:35], v[2:3]
	;; [unrolled: 1-line block ×3, first 2 shown]
	v_fma_f64 v[4:5], v[124:125], s[16:17], -v[12:13]
	v_add_f64 v[2:3], v[6:7], v[2:3]
	v_fma_f64 v[6:7], v[112:113], s[18:19], v[10:11]
	v_add_f64 v[0:1], v[8:9], v[0:1]
	v_add_f64 v[2:3], v[4:5], v[2:3]
	v_mul_f64 v[4:5], v[183:184], s[36:37]
	buffer_store_dword v4, off, s[60:63], 0 offset:176 ; 4-byte Folded Spill
	buffer_store_dword v5, off, s[60:63], 0 offset:180 ; 4-byte Folded Spill
	v_add_f64 v[0:1], v[6:7], v[0:1]
	v_fma_f64 v[4:5], v[138:139], s[18:19], -v[4:5]
	v_add_f64 v[2:3], v[4:5], v[2:3]
	v_mul_f64 v[4:5], v[175:176], s[26:27]
	buffer_store_dword v4, off, s[60:63], 0 offset:196 ; 4-byte Folded Spill
	buffer_store_dword v5, off, s[60:63], 0 offset:200 ; 4-byte Folded Spill
	v_fma_f64 v[4:5], v[143:144], s[24:25], v[4:5]
	v_add_f64 v[0:1], v[4:5], v[0:1]
	v_mul_f64 v[4:5], v[227:228], s[26:27]
	buffer_store_dword v4, off, s[60:63], 0 offset:228 ; 4-byte Folded Spill
	buffer_store_dword v5, off, s[60:63], 0 offset:232 ; 4-byte Folded Spill
	v_fma_f64 v[4:5], v[161:162], s[24:25], -v[4:5]
	v_add_f64 v[2:3], v[4:5], v[2:3]
	v_mul_f64 v[4:5], v[181:182], s[38:39]
	buffer_store_dword v4, off, s[60:63], 0 offset:212 ; 4-byte Folded Spill
	buffer_store_dword v5, off, s[60:63], 0 offset:216 ; 4-byte Folded Spill
	v_fma_f64 v[4:5], v[153:154], s[28:29], v[4:5]
	v_add_f64 v[0:1], v[4:5], v[0:1]
	v_mul_f64 v[4:5], v[245:246], s[38:39]
	buffer_store_dword v4, off, s[60:63], 0 offset:236 ; 4-byte Folded Spill
	buffer_store_dword v5, off, s[60:63], 0 offset:240 ; 4-byte Folded Spill
	v_fma_f64 v[4:5], v[165:166], s[28:29], -v[4:5]
	v_add_f64 v[2:3], v[4:5], v[2:3]
	v_mul_f64 v[4:5], v[151:152], s[40:41]
	buffer_store_dword v4, off, s[60:63], 0 offset:204 ; 4-byte Folded Spill
	buffer_store_dword v5, off, s[60:63], 0 offset:208 ; 4-byte Folded Spill
	v_fma_f64 v[4:5], v[147:148], s[30:31], v[4:5]
	v_add_f64 v[0:1], v[4:5], v[0:1]
	v_mul_f64 v[4:5], v[253:254], s[40:41]
	buffer_store_dword v4, off, s[60:63], 0 offset:220 ; 4-byte Folded Spill
	buffer_store_dword v5, off, s[60:63], 0 offset:224 ; 4-byte Folded Spill
	v_fma_f64 v[4:5], v[157:158], s[30:31], -v[4:5]
	v_add_f64 v[2:3], v[4:5], v[2:3]
	v_mul_f64 v[4:5], v[173:174], s[54:55]
	buffer_store_dword v4, off, s[60:63], 0 offset:244 ; 4-byte Folded Spill
	buffer_store_dword v5, off, s[60:63], 0 offset:248 ; 4-byte Folded Spill
	v_fma_f64 v[4:5], v[169:170], s[34:35], v[4:5]
	v_add_f64 v[0:1], v[4:5], v[0:1]
	v_mul_f64 v[4:5], v[145:146], s[54:55]
	buffer_store_dword v4, off, s[60:63], 0 offset:252 ; 4-byte Folded Spill
	buffer_store_dword v5, off, s[60:63], 0 offset:256 ; 4-byte Folded Spill
	v_fma_f64 v[4:5], v[177:178], s[34:35], -v[4:5]
	v_add_f64 v[2:3], v[4:5], v[2:3]
	v_fma_f64 v[4:5], v[118:119], s[8:9], v[203:204]
	buffer_store_dword v0, off, s[60:63], 0 offset:36 ; 4-byte Folded Spill
	buffer_store_dword v1, off, s[60:63], 0 offset:40 ; 4-byte Folded Spill
	;; [unrolled: 1-line block ×4, first 2 shown]
	v_mul_f64 v[0:1], v[96:97], s[36:37]
	v_add_f64 v[4:5], v[32:33], v[4:5]
	buffer_store_dword v0, off, s[60:63], 0 offset:428 ; 4-byte Folded Spill
	buffer_store_dword v1, off, s[60:63], 0 offset:432 ; 4-byte Folded Spill
	v_fma_f64 v[6:7], v[102:103], s[18:19], v[0:1]
	v_mul_f64 v[0:1], v[98:99], s[36:37]
	buffer_store_dword v0, off, s[60:63], 0 offset:452 ; 4-byte Folded Spill
	buffer_store_dword v1, off, s[60:63], 0 offset:456 ; 4-byte Folded Spill
	v_add_f64 v[4:5], v[6:7], v[4:5]
	v_fma_f64 v[6:7], v[126:127], s[8:9], -v[205:206]
	v_add_f64 v[6:7], v[34:35], v[6:7]
	v_fma_f64 v[8:9], v[106:107], s[18:19], -v[0:1]
	v_mul_f64 v[0:1], v[100:101], s[38:39]
	buffer_store_dword v0, off, s[60:63], 0 offset:420 ; 4-byte Folded Spill
	buffer_store_dword v1, off, s[60:63], 0 offset:424 ; 4-byte Folded Spill
	v_add_f64 v[6:7], v[8:9], v[6:7]
	v_fma_f64 v[8:9], v[116:117], s[28:29], v[0:1]
	v_mul_f64 v[0:1], v[132:133], s[38:39]
	buffer_store_dword v0, off, s[60:63], 0 offset:436 ; 4-byte Folded Spill
	buffer_store_dword v1, off, s[60:63], 0 offset:440 ; 4-byte Folded Spill
	v_add_f64 v[4:5], v[8:9], v[4:5]
	v_fma_f64 v[8:9], v[124:125], s[28:29], -v[0:1]
	v_mul_f64 v[0:1], v[110:111], s[54:55]
	buffer_store_dword v0, off, s[60:63], 0 offset:396 ; 4-byte Folded Spill
	buffer_store_dword v1, off, s[60:63], 0 offset:400 ; 4-byte Folded Spill
	v_add_f64 v[6:7], v[8:9], v[6:7]
	v_fma_f64 v[8:9], v[112:113], s[34:35], v[0:1]
	v_mul_f64 v[0:1], v[183:184], s[54:55]
	buffer_store_dword v0, off, s[60:63], 0 offset:412 ; 4-byte Folded Spill
	buffer_store_dword v1, off, s[60:63], 0 offset:416 ; 4-byte Folded Spill
	;; [unrolled: 10-line block ×5, first 2 shown]
	v_add_f64 v[4:5], v[8:9], v[4:5]
	v_fma_f64 v[8:9], v[157:158], s[16:17], -v[0:1]
	v_mul_f64 v[1:2], v[173:174], s[48:49]
	v_mov_b32_e32 v0, v155
	v_mul_f64 v[155:156], v[253:254], s[46:47]
	v_mov_b32_e32 v255, v0
	v_mul_lo_u16 v0, v0, 17
	v_add_f64 v[6:7], v[8:9], v[6:7]
	v_fma_f64 v[8:9], v[169:170], s[0:1], v[1:2]
	v_add_f64 v[3:4], v[8:9], v[4:5]
	v_mul_f64 v[8:9], v[145:146], s[48:49]
	buffer_store_dword v8, off, s[60:63], 0 offset:260 ; 4-byte Folded Spill
	buffer_store_dword v9, off, s[60:63], 0 offset:264 ; 4-byte Folded Spill
	v_fma_f64 v[8:9], v[177:178], s[0:1], -v[8:9]
	v_add_f64 v[5:6], v[8:9], v[6:7]
	buffer_store_dword v3, off, s[60:63], 0 ; 4-byte Folded Spill
	buffer_store_dword v4, off, s[60:63], 0 offset:4 ; 4-byte Folded Spill
	buffer_store_dword v5, off, s[60:63], 0 offset:8 ; 4-byte Folded Spill
	;; [unrolled: 1-line block ×3, first 2 shown]
	v_mul_f64 v[3:4], v[96:97], s[38:39]
	buffer_store_dword v3, off, s[60:63], 0 offset:492 ; 4-byte Folded Spill
	buffer_store_dword v4, off, s[60:63], 0 offset:496 ; 4-byte Folded Spill
	v_fma_f64 v[8:9], v[118:119], s[16:17], v[223:224]
	v_add_f64 v[8:9], v[32:33], v[8:9]
	v_fma_f64 v[10:11], v[102:103], s[28:29], v[3:4]
	v_mul_f64 v[3:4], v[98:99], s[38:39]
	buffer_store_dword v3, off, s[60:63], 0 offset:524 ; 4-byte Folded Spill
	buffer_store_dword v4, off, s[60:63], 0 offset:528 ; 4-byte Folded Spill
	v_add_f64 v[8:9], v[10:11], v[8:9]
	v_fma_f64 v[10:11], v[126:127], s[16:17], -v[231:232]
	v_add_f64 v[10:11], v[34:35], v[10:11]
	v_fma_f64 v[12:13], v[106:107], s[28:29], -v[3:4]
	v_mul_f64 v[3:4], v[100:101], s[58:59]
	buffer_store_dword v3, off, s[60:63], 0 offset:508 ; 4-byte Folded Spill
	buffer_store_dword v4, off, s[60:63], 0 offset:512 ; 4-byte Folded Spill
	v_add_f64 v[10:11], v[12:13], v[10:11]
	v_fma_f64 v[12:13], v[116:117], s[34:35], v[3:4]
	v_mul_f64 v[3:4], v[132:133], s[58:59]
	buffer_store_dword v3, off, s[60:63], 0 offset:532 ; 4-byte Folded Spill
	buffer_store_dword v4, off, s[60:63], 0 offset:536 ; 4-byte Folded Spill
	v_add_f64 v[8:9], v[12:13], v[8:9]
	v_fma_f64 v[12:13], v[124:125], s[34:35], -v[3:4]
	v_mul_f64 v[3:4], v[110:111], s[52:53]
	buffer_store_dword v3, off, s[60:63], 0 offset:484 ; 4-byte Folded Spill
	buffer_store_dword v4, off, s[60:63], 0 offset:488 ; 4-byte Folded Spill
	v_add_f64 v[10:11], v[12:13], v[10:11]
	v_fma_f64 v[12:13], v[112:113], s[24:25], v[3:4]
	v_mul_f64 v[3:4], v[183:184], s[52:53]
	buffer_store_dword v3, off, s[60:63], 0 offset:540 ; 4-byte Folded Spill
	buffer_store_dword v4, off, s[60:63], 0 offset:544 ; 4-byte Folded Spill
	v_add_f64 v[8:9], v[12:13], v[8:9]
	v_fma_f64 v[12:13], v[138:139], s[24:25], -v[3:4]
	v_mul_f64 v[3:4], v[227:228], s[46:47]
	v_add_f64 v[10:11], v[12:13], v[10:11]
	v_mul_f64 v[12:13], v[175:176], s[46:47]
	buffer_store_dword v12, off, s[60:63], 0 offset:380 ; 4-byte Folded Spill
	buffer_store_dword v13, off, s[60:63], 0 offset:384 ; 4-byte Folded Spill
	;; [unrolled: 1-line block ×4, first 2 shown]
	v_fma_f64 v[12:13], v[143:144], s[8:9], v[12:13]
	v_add_f64 v[8:9], v[12:13], v[8:9]
	v_fma_f64 v[12:13], v[161:162], s[8:9], -v[3:4]
	v_add_f64 v[10:11], v[12:13], v[10:11]
	v_mul_f64 v[12:13], v[181:182], s[10:11]
	buffer_store_dword v12, off, s[60:63], 0 offset:348 ; 4-byte Folded Spill
	buffer_store_dword v13, off, s[60:63], 0 offset:352 ; 4-byte Folded Spill
	v_fma_f64 v[12:13], v[153:154], s[0:1], v[12:13]
	v_add_f64 v[8:9], v[12:13], v[8:9]
	v_mul_f64 v[12:13], v[245:246], s[10:11]
	buffer_store_dword v12, off, s[60:63], 0 offset:364 ; 4-byte Folded Spill
	buffer_store_dword v13, off, s[60:63], 0 offset:368 ; 4-byte Folded Spill
	v_fma_f64 v[12:13], v[165:166], s[0:1], -v[12:13]
	v_add_f64 v[10:11], v[12:13], v[10:11]
	v_mul_f64 v[12:13], v[151:152], s[36:37]
	buffer_store_dword v12, off, s[60:63], 0 offset:332 ; 4-byte Folded Spill
	buffer_store_dword v13, off, s[60:63], 0 offset:336 ; 4-byte Folded Spill
	v_fma_f64 v[12:13], v[147:148], s[18:19], v[12:13]
	v_add_f64 v[8:9], v[12:13], v[8:9]
	v_mul_f64 v[12:13], v[253:254], s[36:37]
	buffer_store_dword v12, off, s[60:63], 0 offset:340 ; 4-byte Folded Spill
	buffer_store_dword v13, off, s[60:63], 0 offset:344 ; 4-byte Folded Spill
	;; [unrolled: 10-line block ×3, first 2 shown]
	v_mul_f64 v[8:9], v[100:101], s[46:47]
	v_fma_f64 v[12:13], v[177:178], s[30:31], -v[12:13]
	v_add_f64 v[5:6], v[12:13], v[10:11]
	buffer_store_dword v3, off, s[60:63], 0 offset:16 ; 4-byte Folded Spill
	buffer_store_dword v4, off, s[60:63], 0 offset:20 ; 4-byte Folded Spill
	;; [unrolled: 1-line block ×4, first 2 shown]
	v_mul_f64 v[3:4], v[96:97], s[54:55]
	buffer_store_dword v3, off, s[60:63], 0 offset:556 ; 4-byte Folded Spill
	buffer_store_dword v4, off, s[60:63], 0 offset:560 ; 4-byte Folded Spill
	v_fma_f64 v[12:13], v[118:119], s[18:19], v[251:252]
	v_mul_f64 v[10:11], v[96:97], s[50:51]
	v_mul_f64 v[5:6], v[253:254], s[10:11]
	v_add_f64 v[12:13], v[32:33], v[12:13]
	v_fma_f64 v[18:19], v[102:103], s[30:31], v[10:11]
	v_fma_f64 v[14:15], v[102:103], s[34:35], v[3:4]
	v_mul_f64 v[3:4], v[98:99], s[54:55]
	buffer_store_dword v3, off, s[60:63], 0 offset:572 ; 4-byte Folded Spill
	buffer_store_dword v4, off, s[60:63], 0 offset:576 ; 4-byte Folded Spill
	v_add_f64 v[12:13], v[14:15], v[12:13]
	v_fma_f64 v[14:15], v[126:127], s[18:19], -v[114:115]
	v_add_f64 v[14:15], v[34:35], v[14:15]
	v_fma_f64 v[16:17], v[106:107], s[34:35], -v[3:4]
	v_mul_f64 v[3:4], v[100:101], s[52:53]
	buffer_store_dword v3, off, s[60:63], 0 offset:564 ; 4-byte Folded Spill
	buffer_store_dword v4, off, s[60:63], 0 offset:568 ; 4-byte Folded Spill
	v_add_f64 v[14:15], v[16:17], v[14:15]
	v_fma_f64 v[16:17], v[116:117], s[24:25], v[3:4]
	v_mul_f64 v[3:4], v[132:133], s[52:53]
	buffer_store_dword v3, off, s[60:63], 0 offset:588 ; 4-byte Folded Spill
	buffer_store_dword v4, off, s[60:63], 0 offset:592 ; 4-byte Folded Spill
	v_add_f64 v[12:13], v[16:17], v[12:13]
	v_fma_f64 v[16:17], v[124:125], s[24:25], -v[3:4]
	v_mul_f64 v[3:4], v[110:111], s[48:49]
	buffer_store_dword v3, off, s[60:63], 0 offset:580 ; 4-byte Folded Spill
	buffer_store_dword v4, off, s[60:63], 0 offset:584 ; 4-byte Folded Spill
	v_add_f64 v[14:15], v[16:17], v[14:15]
	v_fma_f64 v[16:17], v[112:113], s[0:1], v[3:4]
	v_mul_f64 v[3:4], v[183:184], s[48:49]
	buffer_store_dword v3, off, s[60:63], 0 offset:604 ; 4-byte Folded Spill
	buffer_store_dword v4, off, s[60:63], 0 offset:608 ; 4-byte Folded Spill
	;; [unrolled: 10-line block ×3, first 2 shown]
	v_add_f64 v[12:13], v[16:17], v[12:13]
	v_fma_f64 v[16:17], v[161:162], s[16:17], -v[3:4]
	v_mul_f64 v[3:4], v[98:99], s[50:51]
	v_add_f64 v[14:15], v[16:17], v[14:15]
	v_mul_f64 v[16:17], v[181:182], s[40:41]
	buffer_store_dword v16, off, s[60:63], 0 offset:444 ; 4-byte Folded Spill
	buffer_store_dword v17, off, s[60:63], 0 offset:448 ; 4-byte Folded Spill
	v_fma_f64 v[16:17], v[153:154], s[30:31], v[16:17]
	v_add_f64 v[12:13], v[16:17], v[12:13]
	v_mul_f64 v[16:17], v[245:246], s[40:41]
	buffer_store_dword v16, off, s[60:63], 0 offset:460 ; 4-byte Folded Spill
	buffer_store_dword v17, off, s[60:63], 0 offset:464 ; 4-byte Folded Spill
	v_fma_f64 v[16:17], v[165:166], s[30:31], -v[16:17]
	v_add_f64 v[14:15], v[16:17], v[14:15]
	v_mul_f64 v[16:17], v[151:152], s[56:57]
	buffer_store_dword v16, off, s[60:63], 0 offset:388 ; 4-byte Folded Spill
	buffer_store_dword v17, off, s[60:63], 0 offset:392 ; 4-byte Folded Spill
	v_fma_f64 v[16:17], v[147:148], s[28:29], v[16:17]
	v_add_f64 v[12:13], v[16:17], v[12:13]
	v_mul_f64 v[16:17], v[253:254], s[56:57]
	buffer_store_dword v16, off, s[60:63], 0 offset:404 ; 4-byte Folded Spill
	buffer_store_dword v17, off, s[60:63], 0 offset:408 ; 4-byte Folded Spill
	v_fma_f64 v[16:17], v[157:158], s[28:29], -v[16:17]
	v_add_f64 v[14:15], v[16:17], v[14:15]
	v_mul_f64 v[16:17], v[173:174], s[46:47]
	buffer_store_dword v16, off, s[60:63], 0 offset:356 ; 4-byte Folded Spill
	buffer_store_dword v17, off, s[60:63], 0 offset:360 ; 4-byte Folded Spill
	v_fma_f64 v[16:17], v[169:170], s[8:9], v[16:17]
	v_add_f64 v[12:13], v[16:17], v[12:13]
	v_mul_f64 v[16:17], v[145:146], s[46:47]
	buffer_store_dword v16, off, s[60:63], 0 offset:372 ; 4-byte Folded Spill
	buffer_store_dword v17, off, s[60:63], 0 offset:376 ; 4-byte Folded Spill
	;; [unrolled: 1-line block ×4, first 2 shown]
	v_fma_f64 v[16:17], v[177:178], s[8:9], -v[16:17]
	v_fma_f64 v[24:25], v[106:107], s[30:31], -v[3:4]
	v_mul_f64 v[3:4], v[181:182], s[44:45]
	buffer_store_dword v3, off, s[60:63], 0 offset:500 ; 4-byte Folded Spill
	buffer_store_dword v4, off, s[60:63], 0 offset:504 ; 4-byte Folded Spill
	v_add_f64 v[14:15], v[16:17], v[14:15]
	v_fma_f64 v[16:17], v[118:119], s[24:25], v[163:164]
	v_add_f64 v[16:17], v[32:33], v[16:17]
	v_add_f64 v[16:17], v[18:19], v[16:17]
	v_fma_f64 v[18:19], v[126:127], s[24:25], -v[167:168]
	v_add_f64 v[18:19], v[34:35], v[18:19]
	v_add_f64 v[18:19], v[24:25], v[18:19]
	v_fma_f64 v[24:25], v[116:117], s[8:9], v[8:9]
	v_add_f64 v[16:17], v[24:25], v[16:17]
	v_fma_f64 v[24:25], v[124:125], s[8:9], -v[195:196]
	v_add_f64 v[18:19], v[24:25], v[18:19]
	v_fma_f64 v[24:25], v[112:113], s[16:17], v[193:194]
	v_add_f64 v[16:17], v[24:25], v[16:17]
	v_fma_f64 v[24:25], v[138:139], s[16:17], -v[199:200]
	;; [unrolled: 4-line block ×3, first 2 shown]
	v_add_f64 v[18:19], v[24:25], v[18:19]
	v_fma_f64 v[24:25], v[153:154], s[18:19], v[3:4]
	v_mul_f64 v[3:4], v[245:246], s[44:45]
	buffer_store_dword v3, off, s[60:63], 0 offset:516 ; 4-byte Folded Spill
	buffer_store_dword v4, off, s[60:63], 0 offset:520 ; 4-byte Folded Spill
	;; [unrolled: 1-line block ×4, first 2 shown]
	v_add_f64 v[16:17], v[24:25], v[16:17]
	v_fma_f64 v[24:25], v[165:166], s[18:19], -v[3:4]
	v_mul_f64 v[3:4], v[151:152], s[10:11]
	v_add_f64 v[18:19], v[24:25], v[18:19]
	v_fma_f64 v[24:25], v[147:148], s[0:1], v[3:4]
	v_add_f64 v[16:17], v[24:25], v[16:17]
	v_fma_f64 v[24:25], v[157:158], s[0:1], -v[5:6]
	v_mul_f64 v[6:7], v[145:146], s[38:39]
	v_add_f64 v[18:19], v[24:25], v[18:19]
	v_mul_f64 v[24:25], v[173:174], s[38:39]
	buffer_store_dword v24, off, s[60:63], 0 offset:468 ; 4-byte Folded Spill
	buffer_store_dword v25, off, s[60:63], 0 offset:472 ; 4-byte Folded Spill
	s_clause 0x1
	s_load_dwordx2 s[6:7], s[4:5], 0x20
	s_load_dwordx2 s[2:3], s[4:5], 0x8
	s_waitcnt lgkmcnt(0)
	s_waitcnt_vscnt null, 0x0
	s_barrier
	buffer_gl0_inv
	buffer_store_dword v0, off, s[60:63], 0 offset:60 ; 4-byte Folded Spill
	v_fma_f64 v[24:25], v[169:170], s[28:29], v[24:25]
	v_add_f64 v[16:17], v[24:25], v[16:17]
	v_fma_f64 v[24:25], v[177:178], s[28:29], -v[6:7]
	v_add_f64 v[18:19], v[24:25], v[18:19]
	v_fma_f64 v[24:25], v[118:119], s[28:29], v[171:172]
	v_add_f64 v[24:25], v[32:33], v[24:25]
	v_add_f64 v[24:25], v[26:27], v[24:25]
	v_fma_f64 v[26:27], v[126:127], s[28:29], -v[179:180]
	v_add_f64 v[26:27], v[34:35], v[26:27]
	v_add_f64 v[26:27], v[28:29], v[26:27]
	v_fma_f64 v[28:29], v[116:117], s[0:1], v[209:210]
	v_add_f64 v[24:25], v[28:29], v[24:25]
	v_fma_f64 v[28:29], v[124:125], s[0:1], -v[217:218]
	v_add_f64 v[26:27], v[28:29], v[26:27]
	v_fma_f64 v[28:29], v[112:113], s[30:31], v[211:212]
	v_add_f64 v[24:25], v[28:29], v[24:25]
	v_fma_f64 v[28:29], v[138:139], s[30:31], -v[221:222]
	;; [unrolled: 4-line block ×6, first 2 shown]
	v_add_f64 v[30:31], v[24:25], v[26:27]
	v_fma_f64 v[24:25], v[118:119], s[30:31], v[185:186]
	v_fma_f64 v[26:27], v[102:103], s[16:17], v[241:242]
	v_add_f64 v[24:25], v[32:33], v[24:25]
	v_add_f64 v[24:25], v[26:27], v[24:25]
	v_fma_f64 v[26:27], v[126:127], s[30:31], -v[187:188]
	v_add_f64 v[26:27], v[34:35], v[26:27]
	v_add_f64 v[26:27], v[104:105], v[26:27]
	v_fma_f64 v[104:105], v[116:117], s[18:19], v[243:244]
	v_add_f64 v[24:25], v[104:105], v[24:25]
	v_fma_f64 v[104:105], v[124:125], s[18:19], -v[108:109]
	v_add_f64 v[26:27], v[104:105], v[26:27]
	v_fma_f64 v[104:105], v[112:113], s[28:29], v[247:248]
	v_add_f64 v[24:25], v[104:105], v[24:25]
	v_fma_f64 v[104:105], v[138:139], s[28:29], -v[128:129]
	v_add_f64 v[26:27], v[104:105], v[26:27]
	v_mul_f64 v[104:105], v[175:176], s[10:11]
	v_fma_f64 v[120:121], v[143:144], s[0:1], v[104:105]
	v_add_f64 v[24:25], v[120:121], v[24:25]
	v_fma_f64 v[120:121], v[161:162], s[0:1], -v[136:137]
	v_add_f64 v[26:27], v[120:121], v[26:27]
	v_mul_f64 v[120:121], v[181:182], s[54:55]
	;; [unrolled: 5-line block ×4, first 2 shown]
	v_fma_f64 v[159:160], v[169:170], s[24:25], v[141:142]
	v_add_f64 v[24:25], v[159:160], v[24:25]
	v_mul_f64 v[159:160], v[145:146], s[26:27]
	v_fma_f64 v[190:191], v[177:178], s[24:25], -v[159:160]
	v_add_f64 v[26:27], v[190:191], v[26:27]
	s_and_saveexec_b32 s4, vcc_lo
	s_cbranch_execz .LBB0_7
; %bb.6:
	buffer_store_dword v16, off, s[60:63], 0 offset:628 ; 4-byte Folded Spill
	buffer_store_dword v17, off, s[60:63], 0 offset:632 ; 4-byte Folded Spill
	;; [unrolled: 1-line block ×4, first 2 shown]
	v_mov_b32_e32 v17, v15
	v_mov_b32_e32 v16, v14
	v_mov_b32_e32 v15, v13
	v_mov_b32_e32 v14, v12
	v_mov_b32_e32 v13, v9
	v_mov_b32_e32 v12, v8
	v_mov_b32_e32 v9, v4
	v_mov_b32_e32 v8, v3
	v_mov_b32_e32 v5, v2
	v_mov_b32_e32 v4, v1
	s_clause 0x1
	buffer_load_dword v0, off, s[60:63], 0 offset:160
	buffer_load_dword v1, off, s[60:63], 0 offset:164
	v_add_f64 v[48:49], v[32:33], v[48:49]
	v_add_f64 v[50:51], v[34:35], v[50:51]
	v_mul_f64 v[190:191], v[153:154], s[8:9]
	v_mul_f64 v[96:97], v[96:97], s[48:49]
	;; [unrolled: 1-line block ×3, first 2 shown]
	v_add_f64 v[48:49], v[48:49], v[52:53]
	v_add_f64 v[50:51], v[50:51], v[54:55]
	v_mul_f64 v[54:55], v[118:119], s[28:29]
	v_add_f64 v[190:191], v[190:191], -v[219:220]
	v_mul_f64 v[219:220], v[138:139], s[0:1]
	v_fma_f64 v[2:3], v[116:117], s[30:31], -v[100:101]
	v_add_f64 v[48:49], v[48:49], v[60:61]
	v_add_f64 v[50:51], v[50:51], v[62:63]
	v_mul_f64 v[60:61], v[126:127], s[18:19]
	v_add_f64 v[54:55], v[54:55], -v[171:172]
	v_mul_f64 v[62:63], v[118:119], s[18:19]
	v_add_f64 v[48:49], v[48:49], v[64:65]
	v_add_f64 v[50:51], v[50:51], v[66:67]
	v_mul_f64 v[64:65], v[126:127], s[16:17]
	v_add_f64 v[60:61], v[114:115], v[60:61]
	v_mul_f64 v[66:67], v[118:119], s[16:17]
	v_add_f64 v[62:63], v[62:63], -v[251:252]
	v_mul_f64 v[251:252], v[124:125], s[28:29]
	v_add_f64 v[54:55], v[32:33], v[54:55]
	v_add_f64 v[48:49], v[48:49], v[68:69]
	;; [unrolled: 1-line block ×3, first 2 shown]
	v_mul_f64 v[68:69], v[126:127], s[8:9]
	v_add_f64 v[64:65], v[231:232], v[64:65]
	v_add_f64 v[60:61], v[34:35], v[60:61]
	v_mul_f64 v[70:71], v[118:119], s[8:9]
	v_add_f64 v[66:67], v[66:67], -v[223:224]
	v_mul_f64 v[223:224], v[106:107], s[34:35]
	v_mul_f64 v[231:232], v[112:113], s[0:1]
	v_add_f64 v[62:63], v[32:33], v[62:63]
	v_add_f64 v[48:49], v[48:49], v[72:73]
	v_mul_f64 v[72:73], v[126:127], s[0:1]
	v_add_f64 v[50:51], v[50:51], v[74:75]
	v_add_f64 v[68:69], v[205:206], v[68:69]
	v_mul_f64 v[205:206], v[112:113], s[30:31]
	v_add_f64 v[64:65], v[34:35], v[64:65]
	v_mul_f64 v[74:75], v[122:123], s[54:55]
	v_add_f64 v[70:71], v[70:71], -v[203:204]
	v_mul_f64 v[203:204], v[143:144], s[18:19]
	v_add_f64 v[66:67], v[32:33], v[66:67]
	v_add_f64 v[48:49], v[48:49], v[76:77]
	;; [unrolled: 1-line block ×3, first 2 shown]
	v_mul_f64 v[78:79], v[118:119], s[0:1]
	v_add_f64 v[205:206], v[205:206], -v[211:212]
	v_mul_f64 v[211:212], v[116:117], s[0:1]
	v_add_f64 v[68:69], v[34:35], v[68:69]
	v_fma_f64 v[76:77], v[118:119], s[34:35], v[74:75]
	v_fma_f64 v[74:75], v[118:119], s[34:35], -v[74:75]
	v_add_f64 v[203:204], v[203:204], -v[215:216]
	v_mul_f64 v[215:216], v[102:103], s[30:31]
	v_add_f64 v[70:71], v[32:33], v[70:71]
	v_add_f64 v[48:49], v[48:49], v[80:81]
	;; [unrolled: 1-line block ×3, first 2 shown]
	v_add_f64 v[209:210], v[211:212], -v[209:210]
	v_mul_f64 v[211:212], v[102:103], s[24:25]
	v_add_f64 v[76:77], v[32:33], v[76:77]
	v_add_f64 v[74:75], v[32:33], v[74:75]
	v_add_f64 v[215:216], v[215:216], -v[10:11]
	v_add_f64 v[48:49], v[48:49], v[84:85]
	v_add_f64 v[50:51], v[50:51], v[86:87]
	v_add_f64 v[207:208], v[211:212], -v[207:208]
	v_mul_f64 v[211:212], v[161:162], s[34:35]
	v_add_f64 v[48:49], v[48:49], v[88:89]
	v_add_f64 v[50:51], v[50:51], v[90:91]
	v_add_f64 v[54:55], v[207:208], v[54:55]
	v_add_f64 v[201:202], v[201:202], v[211:212]
	v_mul_f64 v[211:212], v[138:139], s[16:17]
	v_add_f64 v[52:53], v[48:49], v[92:93]
	v_add_f64 v[50:51], v[50:51], v[94:95]
	;; [unrolled: 1-line block ×4, first 2 shown]
	v_mul_f64 v[211:212], v[124:125], s[8:9]
	v_add_f64 v[48:49], v[50:51], v[58:59]
	v_add_f64 v[50:51], v[52:53], v[56:57]
	v_mul_f64 v[52:53], v[126:127], s[28:29]
	v_mul_f64 v[56:57], v[126:127], s[24:25]
	;; [unrolled: 1-line block ×3, first 2 shown]
	v_add_f64 v[54:55], v[205:206], v[54:55]
	v_add_f64 v[195:196], v[195:196], v[211:212]
	v_mul_f64 v[211:212], v[106:107], s[30:31]
	v_add_f64 v[46:47], v[48:49], v[46:47]
	v_add_f64 v[44:45], v[50:51], v[44:45]
	v_mul_f64 v[48:49], v[126:127], s[30:31]
	;; [unrolled: 3-line block ×3, first 2 shown]
	v_add_f64 v[58:59], v[58:59], -v[163:164]
	v_add_f64 v[54:55], v[203:204], v[54:55]
	v_add_f64 v[42:43], v[46:47], v[42:43]
	;; [unrolled: 1-line block ×3, first 2 shown]
	v_mul_f64 v[44:45], v[126:127], s[34:35]
	v_add_f64 v[48:49], v[187:188], v[48:49]
	v_add_f64 v[52:53], v[34:35], v[52:53]
	;; [unrolled: 1-line block ×3, first 2 shown]
	v_add_f64 v[50:51], v[50:51], -v[185:186]
	v_add_f64 v[58:59], v[32:33], v[58:59]
	v_add_f64 v[54:55], v[190:191], v[54:55]
	v_fma_f64 v[46:47], v[130:131], s[58:59], v[44:45]
	v_fma_f64 v[44:45], v[130:131], s[54:55], v[44:45]
	v_add_f64 v[84:85], v[34:35], v[48:49]
	v_mul_f64 v[48:49], v[157:158], s[34:35]
	v_add_f64 v[86:87], v[32:33], v[50:51]
	v_mul_f64 v[50:51], v[147:148], s[34:35]
	v_add_f64 v[58:59], v[215:216], v[58:59]
	s_waitcnt vmcnt(0)
	v_add_f64 v[72:73], v[0:1], v[72:73]
	s_clause 0x1
	buffer_load_dword v0, off, s[60:63], 0 offset:144
	buffer_load_dword v1, off, s[60:63], 0 offset:148
	v_add_f64 v[80:81], v[34:35], v[46:47]
	v_add_f64 v[82:83], v[34:35], v[44:45]
	v_mul_f64 v[46:47], v[153:154], s[34:35]
	v_add_f64 v[167:168], v[237:238], v[48:49]
	v_mul_f64 v[48:49], v[165:166], s[8:9]
	v_add_f64 v[50:51], v[50:51], -v[225:226]
	v_mul_f64 v[225:226], v[143:144], s[16:17]
	v_add_f64 v[72:73], v[34:35], v[72:73]
	v_add_f64 v[34:35], v[40:41], v[36:37]
	v_mul_f64 v[40:41], v[157:158], s[24:25]
	v_mul_f64 v[237:238], v[138:139], s[24:25]
	;; [unrolled: 1-line block ×3, first 2 shown]
	v_add_f64 v[120:121], v[46:47], -v[120:121]
	v_mul_f64 v[46:47], v[143:144], s[0:1]
	v_add_f64 v[171:172], v[235:236], v[48:49]
	v_mul_f64 v[48:49], v[161:162], s[18:19]
	v_mul_f64 v[235:236], v[124:125], s[34:35]
	v_add_f64 v[20:21], v[34:35], v[20:21]
	v_fma_f64 v[88:89], v[253:254], s[52:53], v[40:41]
	v_fma_f64 v[90:91], v[253:254], s[26:27], v[40:41]
	v_mul_f64 v[40:41], v[165:166], s[16:17]
	v_add_f64 v[44:45], v[44:45], -v[134:135]
	v_mul_f64 v[253:254], v[116:117], s[28:29]
	v_add_f64 v[104:105], v[46:47], -v[104:105]
	v_mul_f64 v[46:47], v[112:113], s[28:29]
	v_add_f64 v[179:180], v[229:230], v[48:49]
	v_mul_f64 v[48:49], v[138:139], s[30:31]
	v_mul_f64 v[229:230], v[116:117], s[24:25]
	v_fma_f64 v[92:93], v[245:246], s[22:23], v[40:41]
	v_fma_f64 v[94:95], v[245:246], s[42:43], v[40:41]
	v_mul_f64 v[40:41], v[161:162], s[28:29]
	v_mul_f64 v[245:246], v[102:103], s[18:19]
	v_add_f64 v[134:135], v[46:47], -v[247:248]
	v_mul_f64 v[46:47], v[116:117], s[18:19]
	v_mul_f64 v[247:248], v[116:117], s[34:35]
	v_fma_f64 v[114:115], v[227:228], s[56:57], v[40:41]
	v_fma_f64 v[118:119], v[227:228], s[38:39], v[40:41]
	v_mul_f64 v[40:41], v[138:139], s[8:9]
	v_mul_f64 v[227:228], v[102:103], s[34:35]
	v_fma_f64 v[122:123], v[183:184], s[20:21], v[40:41]
	v_fma_f64 v[126:127], v[183:184], s[46:47], v[40:41]
	v_add_f64 v[183:184], v[221:222], v[48:49]
	v_mul_f64 v[48:49], v[124:125], s[0:1]
	v_mul_f64 v[221:222], v[124:125], s[24:25]
	;; [unrolled: 1-line block ×3, first 2 shown]
	v_add_f64 v[185:186], v[217:218], v[48:49]
	v_mul_f64 v[217:218], v[161:162], s[16:17]
	v_mul_f64 v[48:49], v[106:107], s[24:25]
	v_fma_f64 v[130:131], v[132:133], s[50:51], v[40:41]
	v_fma_f64 v[132:133], v[132:133], s[40:41], v[40:41]
	v_mul_f64 v[40:41], v[106:107], s[0:1]
	v_add_f64 v[187:188], v[213:214], v[48:49]
	v_mul_f64 v[48:49], v[169:170], s[16:17]
	v_mul_f64 v[213:214], v[143:144], s[34:35]
	v_add_f64 v[52:53], v[187:188], v[52:53]
	v_add_f64 v[48:49], v[48:49], -v[233:234]
	v_mul_f64 v[233:234], v[106:107], s[28:29]
	v_add_f64 v[197:198], v[213:214], -v[197:198]
	v_mul_f64 v[213:214], v[112:113], s[16:17]
	v_add_f64 v[52:53], v[185:186], v[52:53]
	v_add_f64 v[192:193], v[213:214], -v[193:194]
	v_mul_f64 v[213:214], v[116:117], s[8:9]
	v_add_f64 v[52:53], v[183:184], v[52:53]
	v_add_f64 v[213:214], v[213:214], -v[12:13]
	v_mov_b32_e32 v12, v14
	v_mov_b32_e32 v13, v15
	;; [unrolled: 1-line block ×4, first 2 shown]
	v_add_f64 v[52:53], v[179:180], v[52:53]
	v_add_f64 v[58:59], v[213:214], v[58:59]
	;; [unrolled: 1-line block ×6, first 2 shown]
	s_waitcnt vmcnt(0)
	v_add_f64 v[78:79], v[78:79], -v[0:1]
	v_add_f64 v[0:1], v[42:43], v[38:39]
	v_mul_f64 v[38:39], v[177:178], s[18:19]
	buffer_store_dword v0, off, s[60:63], 0 offset:144 ; 4-byte Folded Spill
	buffer_store_dword v1, off, s[60:63], 0 offset:148 ; 4-byte Folded Spill
	s_clause 0x1
	buffer_load_dword v0, off, s[60:63], 0 offset:620
	buffer_load_dword v1, off, s[60:63], 0 offset:624
	v_fma_f64 v[36:37], v[145:146], s[36:37], v[38:39]
	v_fma_f64 v[38:39], v[145:146], s[44:45], v[38:39]
	;; [unrolled: 1-line block ×4, first 2 shown]
	v_mul_f64 v[40:41], v[177:178], s[24:25]
	v_add_f64 v[78:79], v[32:33], v[78:79]
	v_add_f64 v[80:81], v[145:146], v[80:81]
	v_add_f64 v[82:83], v[98:99], v[82:83]
	v_add_f64 v[42:43], v[159:160], v[40:41]
	v_mul_f64 v[40:41], v[157:158], s[8:9]
	v_mul_f64 v[145:146], v[112:113], s[34:35]
	v_add_f64 v[80:81], v[130:131], v[80:81]
	v_add_f64 v[155:156], v[155:156], v[40:41]
	v_mul_f64 v[40:41], v[165:166], s[34:35]
	v_add_f64 v[80:81], v[122:123], v[80:81]
	v_add_f64 v[149:150], v[149:150], v[40:41]
	v_mul_f64 v[40:41], v[161:162], s[0:1]
	v_add_f64 v[80:81], v[114:115], v[80:81]
	v_mul_f64 v[114:115], v[147:148], s[30:31]
	;; [unrolled: 2-line block ×3, first 2 shown]
	v_add_f64 v[80:81], v[92:93], v[80:81]
	v_add_f64 v[128:129], v[128:129], v[40:41]
	v_mul_f64 v[40:41], v[124:125], s[18:19]
	v_mul_f64 v[124:125], v[124:125], s[16:17]
	v_add_f64 v[80:81], v[88:89], v[80:81]
	v_mul_f64 v[88:89], v[161:162], s[30:31]
	v_add_f64 v[108:109], v[108:109], v[40:41]
	;; [unrolled: 2-line block ×3, first 2 shown]
	v_add_f64 v[159:160], v[249:250], v[40:41]
	v_mul_f64 v[40:41], v[169:170], s[24:25]
	v_fma_f64 v[249:250], v[102:103], s[0:1], v[96:97]
	v_fma_f64 v[96:97], v[102:103], s[0:1], -v[96:97]
	v_add_f64 v[84:85], v[159:160], v[84:85]
	v_add_f64 v[40:41], v[40:41], -v[141:142]
	v_add_f64 v[141:142], v[46:47], -v[243:244]
	v_mul_f64 v[46:47], v[102:103], s[16:17]
	v_mul_f64 v[243:244], v[106:107], s[18:19]
	;; [unrolled: 1-line block ×3, first 2 shown]
	v_add_f64 v[74:75], v[96:97], v[74:75]
	v_add_f64 v[76:77], v[249:250], v[76:77]
	v_mul_f64 v[96:97], v[138:139], s[18:19]
	v_add_f64 v[163:164], v[46:47], -v[241:242]
	v_mul_f64 v[46:47], v[177:178], s[16:17]
	v_mul_f64 v[241:242], v[102:103], s[28:29]
	;; [unrolled: 1-line block ×3, first 2 shown]
	v_add_f64 v[2:3], v[2:3], v[74:75]
	v_add_f64 v[74:75], v[108:109], v[84:85]
	v_mul_f64 v[84:85], v[110:111], s[46:47]
	v_mul_f64 v[110:111], v[157:158], s[30:31]
	v_add_f64 v[86:87], v[163:164], v[86:87]
	v_add_f64 v[46:47], v[239:240], v[46:47]
	v_mul_f64 v[239:240], v[161:162], s[8:9]
	v_add_f64 v[74:75], v[128:129], v[74:75]
	v_add_f64 v[74:75], v[136:137], v[74:75]
	;; [unrolled: 1-line block ×4, first 2 shown]
	s_waitcnt vmcnt(0)
	v_add_f64 v[211:212], v[0:1], v[211:212]
	s_clause 0x1
	buffer_load_dword v0, off, s[60:63], 0 offset:612
	buffer_load_dword v1, off, s[60:63], 0 offset:616
	v_add_f64 v[56:57], v[211:212], v[56:57]
	v_add_f64 v[56:57], v[195:196], v[56:57]
	;; [unrolled: 1-line block ×4, first 2 shown]
	s_waitcnt vmcnt(0)
	v_add_f64 v[217:218], v[0:1], v[217:218]
	s_clause 0x1
	buffer_load_dword v0, off, s[60:63], 0 offset:604
	buffer_load_dword v1, off, s[60:63], 0 offset:608
	s_waitcnt vmcnt(0)
	v_add_f64 v[219:220], v[0:1], v[219:220]
	s_clause 0x1
	buffer_load_dword v0, off, s[60:63], 0 offset:588
	buffer_load_dword v1, off, s[60:63], 0 offset:592
	;; [unrolled: 5-line block ×4, first 2 shown]
	v_add_f64 v[60:61], v[223:224], v[60:61]
	v_add_f64 v[60:61], v[221:222], v[60:61]
	;; [unrolled: 1-line block ×4, first 2 shown]
	s_waitcnt vmcnt(0)
	v_add_f64 v[225:226], v[225:226], -v[0:1]
	s_clause 0x1
	buffer_load_dword v0, off, s[60:63], 0 offset:556
	buffer_load_dword v1, off, s[60:63], 0 offset:560
	s_waitcnt vmcnt(0)
	v_add_f64 v[227:228], v[227:228], -v[0:1]
	s_clause 0x1
	buffer_load_dword v0, off, s[60:63], 0 offset:564
	buffer_load_dword v1, off, s[60:63], 0 offset:568
	v_add_f64 v[62:63], v[227:228], v[62:63]
	s_waitcnt vmcnt(0)
	v_add_f64 v[229:230], v[229:230], -v[0:1]
	s_clause 0x1
	buffer_load_dword v0, off, s[60:63], 0 offset:580
	buffer_load_dword v1, off, s[60:63], 0 offset:584
	v_add_f64 v[62:63], v[229:230], v[62:63]
	s_waitcnt vmcnt(0)
	v_add_f64 v[231:232], v[231:232], -v[0:1]
	s_clause 0x1
	buffer_load_dword v0, off, s[60:63], 0 offset:524
	buffer_load_dword v1, off, s[60:63], 0 offset:528
	v_add_f64 v[62:63], v[231:232], v[62:63]
	v_add_f64 v[62:63], v[225:226], v[62:63]
	s_waitcnt vmcnt(0)
	v_add_f64 v[233:234], v[0:1], v[233:234]
	s_clause 0x1
	buffer_load_dword v0, off, s[60:63], 0 offset:532
	buffer_load_dword v1, off, s[60:63], 0 offset:536
	v_add_f64 v[64:65], v[233:234], v[64:65]
	s_waitcnt vmcnt(0)
	v_add_f64 v[235:236], v[0:1], v[235:236]
	s_clause 0x1
	buffer_load_dword v0, off, s[60:63], 0 offset:540
	buffer_load_dword v1, off, s[60:63], 0 offset:544
	;; [unrolled: 6-line block ×4, first 2 shown]
	v_add_f64 v[64:65], v[239:240], v[64:65]
	s_waitcnt vmcnt(0)
	v_add_f64 v[241:242], v[241:242], -v[0:1]
	s_clause 0x1
	buffer_load_dword v0, off, s[60:63], 0 offset:452
	buffer_load_dword v1, off, s[60:63], 0 offset:456
	v_add_f64 v[66:67], v[241:242], v[66:67]
	s_waitcnt vmcnt(0)
	v_add_f64 v[243:244], v[0:1], v[243:244]
	s_clause 0x1
	buffer_load_dword v0, off, s[60:63], 0 offset:428
	buffer_load_dword v1, off, s[60:63], 0 offset:432
	v_add_f64 v[68:69], v[243:244], v[68:69]
	s_waitcnt vmcnt(0)
	v_add_f64 v[245:246], v[245:246], -v[0:1]
	s_clause 0x1
	buffer_load_dword v0, off, s[60:63], 0 offset:80
	buffer_load_dword v1, off, s[60:63], 0 offset:84
	v_add_f64 v[70:71], v[245:246], v[70:71]
	s_waitcnt vmcnt(0)
	v_add_f64 v[106:107], v[0:1], v[106:107]
	s_clause 0x1
	buffer_load_dword v0, off, s[60:63], 0 offset:508
	buffer_load_dword v1, off, s[60:63], 0 offset:512
	v_add_f64 v[72:73], v[106:107], v[72:73]
	v_mul_f64 v[106:107], v[165:166], s[28:29]
	s_waitcnt vmcnt(0)
	v_add_f64 v[247:248], v[247:248], -v[0:1]
	s_clause 0x1
	buffer_load_dword v0, off, s[60:63], 0 offset:64
	buffer_load_dword v1, off, s[60:63], 0 offset:68
	v_add_f64 v[66:67], v[247:248], v[66:67]
	s_waitcnt vmcnt(0)
	v_add_f64 v[102:103], v[102:103], -v[0:1]
	s_clause 0x1
	buffer_load_dword v0, off, s[60:63], 0 offset:436
	buffer_load_dword v1, off, s[60:63], 0 offset:440
	v_add_f64 v[78:79], v[102:103], v[78:79]
	v_mul_f64 v[102:103], v[153:154], s[0:1]
	s_waitcnt vmcnt(0)
	v_add_f64 v[251:252], v[0:1], v[251:252]
	s_clause 0x1
	buffer_load_dword v0, off, s[60:63], 0 offset:420
	buffer_load_dword v1, off, s[60:63], 0 offset:424
	v_add_f64 v[68:69], v[251:252], v[68:69]
	s_waitcnt vmcnt(0)
	v_add_f64 v[253:254], v[253:254], -v[0:1]
	s_clause 0x5
	buffer_load_dword v0, off, s[60:63], 0 offset:128
	buffer_load_dword v1, off, s[60:63], 0 offset:132
	;; [unrolled: 1-line block ×6, first 2 shown]
	v_add_f64 v[70:71], v[253:254], v[70:71]
	s_waitcnt vmcnt(4)
	v_add_f64 v[124:125], v[0:1], v[124:125]
	v_fma_f64 v[0:1], v[116:117], s[30:31], v[100:101]
	v_mul_f64 v[100:101], v[116:117], s[16:17]
	v_mul_f64 v[116:117], v[112:113], s[24:25]
	v_add_f64 v[72:73], v[124:125], v[72:73]
	v_add_f64 v[0:1], v[0:1], v[76:77]
	s_waitcnt vmcnt(2)
	v_add_f64 v[100:101], v[100:101], -v[32:33]
	s_waitcnt vmcnt(0)
	v_add_f64 v[116:117], v[116:117], -v[18:19]
	s_clause 0x1
	buffer_load_dword v18, off, s[60:63], 0 offset:412
	buffer_load_dword v19, off, s[60:63], 0 offset:416
	v_mul_f64 v[32:33], v[138:139], s[34:35]
	v_add_f64 v[76:77], v[132:133], v[82:83]
	v_add_f64 v[82:83], v[141:142], v[86:87]
	v_fma_f64 v[86:87], v[112:113], s[8:9], v[84:85]
	v_fma_f64 v[84:85], v[112:113], s[8:9], -v[84:85]
	v_add_f64 v[78:79], v[100:101], v[78:79]
	v_mul_f64 v[100:101], v[165:166], s[0:1]
	v_add_f64 v[66:67], v[116:117], v[66:67]
	v_add_f64 v[76:77], v[126:127], v[76:77]
	;; [unrolled: 1-line block ×5, first 2 shown]
	v_mul_f64 v[84:85], v[175:176], s[38:39]
	v_add_f64 v[76:77], v[118:119], v[76:77]
	v_add_f64 v[82:83], v[104:105], v[82:83]
	v_mul_f64 v[104:105], v[165:166], s[24:25]
	v_mul_f64 v[118:119], v[169:170], s[34:35]
	v_fma_f64 v[86:87], v[143:144], s[28:29], v[84:85]
	v_fma_f64 v[84:85], v[143:144], s[28:29], -v[84:85]
	v_add_f64 v[76:77], v[94:95], v[76:77]
	v_add_f64 v[82:83], v[120:121], v[82:83]
	;; [unrolled: 1-line block ×4, first 2 shown]
	v_mul_f64 v[84:85], v[181:182], s[42:43]
	v_add_f64 v[76:77], v[90:91], v[76:77]
	v_mul_f64 v[90:91], v[161:162], s[24:25]
	v_add_f64 v[82:83], v[44:45], v[82:83]
	v_fma_f64 v[86:87], v[153:154], s[16:17], v[84:85]
	v_fma_f64 v[84:85], v[153:154], s[16:17], -v[84:85]
	v_add_f64 v[44:45], v[38:39], v[76:77]
	v_add_f64 v[0:1], v[86:87], v[0:1]
	;; [unrolled: 1-line block ×3, first 2 shown]
	v_mul_f64 v[84:85], v[112:113], s[18:19]
	s_waitcnt vmcnt(0)
	v_add_f64 v[32:33], v[18:19], v[32:33]
	s_clause 0x5
	buffer_load_dword v18, off, s[60:63], 0 offset:396
	buffer_load_dword v19, off, s[60:63], 0 offset:400
	;; [unrolled: 1-line block ×6, first 2 shown]
	v_add_f64 v[32:33], v[32:33], v[68:69]
	v_mul_f64 v[68:69], v[143:144], s[30:31]
	s_waitcnt vmcnt(4)
	v_add_f64 v[145:146], v[145:146], -v[18:19]
	s_clause 0x1
	buffer_load_dword v18, off, s[60:63], 0 offset:380
	buffer_load_dword v19, off, s[60:63], 0 offset:384
	s_waitcnt vmcnt(2)
	v_add_f64 v[84:85], v[84:85], -v[86:87]
	v_mul_f64 v[86:87], v[143:144], s[8:9]
	v_add_f64 v[96:97], v[98:99], v[96:97]
	v_mul_f64 v[98:99], v[153:154], s[30:31]
	v_add_f64 v[70:71], v[145:146], v[70:71]
	v_add_f64 v[78:79], v[84:85], v[78:79]
	v_mul_f64 v[84:85], v[165:166], s[18:19]
	v_add_f64 v[72:73], v[96:97], v[72:73]
	v_mul_f64 v[96:97], v[165:166], s[30:31]
	s_waitcnt vmcnt(0)
	v_add_f64 v[86:87], v[86:87], -v[18:19]
	s_clause 0x1
	buffer_load_dword v18, off, s[60:63], 0 offset:324
	buffer_load_dword v19, off, s[60:63], 0 offset:328
	v_add_f64 v[66:67], v[86:87], v[66:67]
	v_mul_f64 v[86:87], v[157:158], s[28:29]
	s_waitcnt vmcnt(0)
	v_add_f64 v[88:89], v[18:19], v[88:89]
	s_clause 0x5
	buffer_load_dword v18, off, s[60:63], 0 offset:316
	buffer_load_dword v19, off, s[60:63], 0 offset:320
	;; [unrolled: 1-line block ×6, first 2 shown]
	v_add_f64 v[32:33], v[88:89], v[32:33]
	v_mul_f64 v[88:89], v[153:154], s[24:25]
	s_waitcnt vmcnt(4)
	v_add_f64 v[68:69], v[68:69], -v[18:19]
	s_clause 0x1
	buffer_load_dword v18, off, s[60:63], 0 offset:516
	buffer_load_dword v19, off, s[60:63], 0 offset:520
	s_waitcnt vmcnt(4)
	v_add_f64 v[90:91], v[92:93], v[90:91]
	v_mul_f64 v[92:93], v[143:144], s[24:25]
	v_add_f64 v[68:69], v[68:69], v[70:71]
	v_mul_f64 v[70:71], v[157:158], s[0:1]
	v_add_f64 v[72:73], v[90:91], v[72:73]
	s_waitcnt vmcnt(2)
	v_add_f64 v[92:93], v[92:93], -v[94:95]
	v_mul_f64 v[94:95], v[153:154], s[18:19]
	v_mul_f64 v[90:91], v[153:154], s[28:29]
	v_add_f64 v[78:79], v[92:93], v[78:79]
	v_mul_f64 v[92:93], v[147:148], s[28:29]
	s_waitcnt vmcnt(0)
	v_add_f64 v[84:85], v[18:19], v[84:85]
	s_clause 0x1
	buffer_load_dword v18, off, s[60:63], 0 offset:500
	buffer_load_dword v19, off, s[60:63], 0 offset:504
	v_add_f64 v[56:57], v[84:85], v[56:57]
	v_mul_f64 v[84:85], v[147:148], s[0:1]
	v_add_f64 v[84:85], v[84:85], -v[8:9]
	s_waitcnt vmcnt(0)
	v_add_f64 v[94:95], v[94:95], -v[18:19]
	s_clause 0x1
	buffer_load_dword v18, off, s[60:63], 0 offset:460
	buffer_load_dword v19, off, s[60:63], 0 offset:464
	v_add_f64 v[58:59], v[94:95], v[58:59]
	v_mul_f64 v[94:95], v[177:178], s[30:31]
	v_add_f64 v[84:85], v[84:85], v[58:59]
	s_waitcnt vmcnt(0)
	v_add_f64 v[96:97], v[18:19], v[96:97]
	s_clause 0x1
	buffer_load_dword v18, off, s[60:63], 0 offset:444
	buffer_load_dword v19, off, s[60:63], 0 offset:448
	v_add_f64 v[60:61], v[96:97], v[60:61]
	v_mul_f64 v[96:97], v[157:158], s[18:19]
	s_waitcnt vmcnt(0)
	v_add_f64 v[98:99], v[98:99], -v[18:19]
	s_clause 0x1
	buffer_load_dword v18, off, s[60:63], 0 offset:364
	buffer_load_dword v19, off, s[60:63], 0 offset:368
	v_add_f64 v[62:63], v[98:99], v[62:63]
	v_mul_f64 v[98:99], v[177:178], s[0:1]
	s_waitcnt vmcnt(0)
	v_add_f64 v[100:101], v[18:19], v[100:101]
	s_clause 0x1
	buffer_load_dword v18, off, s[60:63], 0 offset:348
	buffer_load_dword v19, off, s[60:63], 0 offset:352
	v_add_f64 v[64:65], v[100:101], v[64:65]
	v_mul_f64 v[100:101], v[147:148], s[18:19]
	s_waitcnt vmcnt(0)
	v_add_f64 v[102:103], v[102:103], -v[18:19]
	s_clause 0x1
	buffer_load_dword v18, off, s[60:63], 0 offset:292
	buffer_load_dword v19, off, s[60:63], 0 offset:296
	v_add_f64 v[66:67], v[102:103], v[66:67]
	v_mul_f64 v[102:103], v[169:170], s[0:1]
	v_add_f64 v[102:103], v[102:103], -v[4:5]
	s_waitcnt vmcnt(0)
	v_add_f64 v[104:105], v[18:19], v[104:105]
	s_clause 0x3
	buffer_load_dword v18, off, s[60:63], 0 offset:284
	buffer_load_dword v19, off, s[60:63], 0 offset:288
	;; [unrolled: 1-line block ×4, first 2 shown]
	v_add_f64 v[32:33], v[104:105], v[32:33]
	v_mul_f64 v[104:105], v[147:148], s[16:17]
	s_waitcnt vmcnt(2)
	v_add_f64 v[88:89], v[88:89], -v[18:19]
	s_waitcnt vmcnt(0)
	v_add_f64 v[106:107], v[108:109], v[106:107]
	s_clause 0x3
	buffer_load_dword v108, off, s[60:63], 0 offset:212
	buffer_load_dword v109, off, s[60:63], 0 offset:216
	;; [unrolled: 1-line block ×4, first 2 shown]
	v_add_f64 v[68:69], v[88:89], v[68:69]
	v_mul_f64 v[88:89], v[177:178], s[28:29]
	v_add_f64 v[72:73], v[106:107], v[72:73]
	v_mul_f64 v[106:107], v[151:152], s[26:27]
	v_add_f64 v[88:89], v[6:7], v[88:89]
	s_waitcnt vmcnt(2)
	v_add_f64 v[90:91], v[90:91], -v[108:109]
	s_waitcnt vmcnt(0)
	v_add_f64 v[70:71], v[18:19], v[70:71]
	s_clause 0x1
	buffer_load_dword v18, off, s[60:63], 0 offset:404
	buffer_load_dword v19, off, s[60:63], 0 offset:408
	v_mul_f64 v[108:109], v[157:158], s[16:17]
	v_add_f64 v[78:79], v[90:91], v[78:79]
	v_add_f64 v[56:57], v[70:71], v[56:57]
	v_mul_f64 v[70:71], v[169:170], s[28:29]
	v_add_f64 v[58:59], v[88:89], v[56:57]
	s_waitcnt vmcnt(0)
	v_add_f64 v[86:87], v[18:19], v[86:87]
	s_clause 0x1
	buffer_load_dword v18, off, s[60:63], 0 offset:388
	buffer_load_dword v19, off, s[60:63], 0 offset:392
	v_add_f64 v[60:61], v[86:87], v[60:61]
	v_mul_f64 v[86:87], v[169:170], s[8:9]
	s_waitcnt vmcnt(0)
	v_add_f64 v[92:93], v[92:93], -v[18:19]
	s_clause 0x1
	buffer_load_dword v18, off, s[60:63], 0 offset:340
	buffer_load_dword v19, off, s[60:63], 0 offset:344
	v_add_f64 v[92:93], v[92:93], v[62:63]
	s_waitcnt vmcnt(0)
	v_add_f64 v[96:97], v[18:19], v[96:97]
	s_clause 0x1
	buffer_load_dword v18, off, s[60:63], 0 offset:332
	buffer_load_dword v19, off, s[60:63], 0 offset:336
	v_add_f64 v[64:65], v[96:97], v[64:65]
	v_mul_f64 v[96:97], v[169:170], s[30:31]
	s_waitcnt vmcnt(0)
	v_add_f64 v[100:101], v[100:101], -v[18:19]
	s_clause 0x1
	buffer_load_dword v18, off, s[60:63], 0 offset:276
	buffer_load_dword v19, off, s[60:63], 0 offset:280
	v_add_f64 v[100:101], v[100:101], v[66:67]
	s_waitcnt vmcnt(0)
	v_add_f64 v[108:109], v[18:19], v[108:109]
	s_clause 0x5
	buffer_load_dword v18, off, s[60:63], 0 offset:268
	buffer_load_dword v19, off, s[60:63], 0 offset:272
	buffer_load_dword v112, off, s[60:63], 0 offset:220
	buffer_load_dword v113, off, s[60:63], 0 offset:224
	buffer_load_dword v116, off, s[60:63], 0 offset:204
	buffer_load_dword v117, off, s[60:63], 0 offset:208
	v_add_f64 v[32:33], v[108:109], v[32:33]
	v_mul_f64 v[108:109], v[177:178], s[34:35]
	s_waitcnt vmcnt(4)
	v_add_f64 v[104:105], v[104:105], -v[18:19]
	s_clause 0x1
	buffer_load_dword v18, off, s[60:63], 0 offset:468
	buffer_load_dword v19, off, s[60:63], 0 offset:472
	s_waitcnt vmcnt(2)
	v_add_f64 v[114:115], v[114:115], -v[116:117]
	v_add_f64 v[110:111], v[112:113], v[110:111]
	v_fma_f64 v[112:113], v[147:148], s[24:25], v[106:107]
	v_fma_f64 v[106:107], v[147:148], s[24:25], -v[106:107]
	v_add_f64 v[68:69], v[104:105], v[68:69]
	v_add_f64 v[104:105], v[50:51], v[54:55]
	;; [unrolled: 1-line block ×4, first 2 shown]
	v_mul_f64 v[110:111], v[173:174], s[44:45]
	v_add_f64 v[0:1], v[112:113], v[0:1]
	v_add_f64 v[2:3], v[106:107], v[2:3]
	;; [unrolled: 1-line block ×7, first 2 shown]
	s_waitcnt vmcnt(0)
	v_add_f64 v[90:91], v[70:71], -v[18:19]
	s_clause 0x1
	buffer_load_dword v18, off, s[60:63], 0 offset:372
	buffer_load_dword v19, off, s[60:63], 0 offset:376
	v_mul_f64 v[70:71], v[177:178], s[8:9]
	v_add_f64 v[56:57], v[90:91], v[84:85]
	s_waitcnt vmcnt(0)
	v_add_f64 v[70:71], v[18:19], v[70:71]
	s_clause 0x1
	buffer_load_dword v18, off, s[60:63], 0 offset:356
	buffer_load_dword v19, off, s[60:63], 0 offset:360
	v_add_f64 v[62:63], v[70:71], v[60:61]
	s_waitcnt vmcnt(0)
	v_add_f64 v[86:87], v[86:87], -v[18:19]
	s_clause 0x1
	buffer_load_dword v18, off, s[60:63], 0 offset:308
	buffer_load_dword v19, off, s[60:63], 0 offset:312
	v_add_f64 v[60:61], v[86:87], v[92:93]
	s_waitcnt vmcnt(0)
	v_add_f64 v[94:95], v[18:19], v[94:95]
	s_clause 0x1
	buffer_load_dword v18, off, s[60:63], 0 offset:300
	buffer_load_dword v19, off, s[60:63], 0 offset:304
	v_add_f64 v[66:67], v[94:95], v[64:65]
	s_waitcnt vmcnt(0)
	v_add_f64 v[96:97], v[96:97], -v[18:19]
	s_clause 0x9
	buffer_load_dword v18, off, s[60:63], 0 offset:260
	buffer_load_dword v19, off, s[60:63], 0 offset:264
	buffer_load_dword v4, off, s[60:63], 0
	buffer_load_dword v5, off, s[60:63], 0 offset:4
	buffer_load_dword v6, off, s[60:63], 0 offset:8
	;; [unrolled: 1-line block ×7, first 2 shown]
	v_add_f64 v[64:65], v[96:97], v[100:101]
	s_waitcnt vmcnt(8)
	v_add_f64 v[98:99], v[18:19], v[98:99]
	s_clause 0x7
	buffer_load_dword v16, off, s[60:63], 0 offset:628
	buffer_load_dword v17, off, s[60:63], 0 offset:632
	;; [unrolled: 1-line block ×8, first 2 shown]
	v_add_f64 v[70:71], v[98:99], v[32:33]
	s_clause 0x1
	buffer_load_dword v32, off, s[60:63], 0 offset:144
	buffer_load_dword v33, off, s[60:63], 0 offset:148
	s_waitcnt vmcnt(4)
	v_add_f64 v[108:109], v[116:117], v[108:109]
	v_fma_f64 v[116:117], v[169:170], s[18:19], v[110:111]
	s_waitcnt vmcnt(2)
	v_add_f64 v[118:119], v[118:119], -v[120:121]
	v_fma_f64 v[110:111], v[169:170], s[18:19], -v[110:111]
	s_waitcnt vmcnt(0)
	v_add_f64 v[22:23], v[32:33], v[22:23]
	v_add_f64 v[74:75], v[108:109], v[72:73]
	;; [unrolled: 1-line block ×3, first 2 shown]
	buffer_load_dword v0, off, s[60:63], 0 offset:60 ; 4-byte Folded Reload
	v_add_f64 v[72:73], v[118:119], v[78:79]
	v_add_f64 v[42:43], v[110:111], v[2:3]
	s_waitcnt vmcnt(0)
	v_and_b32_e32 v0, 0xffff, v0
	v_add_lshl_u32 v0, v189, v0, 4
	ds_write_b128 v0, v[20:23]
	ds_write_b128 v0, v[72:75] offset:16
	ds_write_b128 v0, v[68:71] offset:32
	;; [unrolled: 1-line block ×15, first 2 shown]
	s_clause 0x3
	buffer_load_dword v20, off, s[60:63], 0 offset:36
	buffer_load_dword v21, off, s[60:63], 0 offset:40
	;; [unrolled: 1-line block ×4, first 2 shown]
	s_waitcnt vmcnt(0)
	ds_write_b128 v0, v[20:23] offset:256
.LBB0_7:
	s_or_b32 exec_lo, exec_lo, s4
	v_mov_b32_e32 v222, v255
	s_waitcnt lgkmcnt(0)
	s_waitcnt_vscnt null, 0x0
	s_barrier
	buffer_gl0_inv
	v_add_lshl_u32 v255, v189, v222, 4
	v_cmp_gt_u16_e64 s0, 17, v222
	ds_read_b128 v[32:35], v255
	ds_read_b128 v[36:39], v255 offset:544
	ds_read_b128 v[52:55], v255 offset:3536
	;; [unrolled: 1-line block ×9, first 2 shown]
	s_and_saveexec_b32 s1, s0
	s_cbranch_execz .LBB0_9
; %bb.8:
	ds_read_b128 v[24:27], v255 offset:2720
	ds_read_b128 v[28:31], v255 offset:5712
.LBB0_9:
	s_or_b32 exec_lo, exec_lo, s1
	v_add_co_u32 v0, s1, 0xffffffef, v222
	v_add_co_ci_u32_e64 v1, null, 0, -1, s1
	v_add_nc_u16 v3, v222, 34
	v_cndmask_b32_e64 v0, v0, v222, s0
	v_add_nc_u16 v20, v222, 0x44
	v_cndmask_b32_e64 v1, v1, 0, s0
	v_add_nc_u16 v21, v222, 0x66
	v_and_b32_e32 v2, 0xff, v3
	v_add_nc_u16 v23, v222, 0x88
	v_and_b32_e32 v56, 0xff, v20
	;; [unrolled: 2-line block ×3, first 2 shown]
	v_mul_lo_u16 v22, 0xf1, v2
	v_lshlrev_b64 v[1:2], 4, v[0:1]
	v_mul_lo_u16 v57, 0xf1, v57
	v_lshrrev_b16 v112, 12, v22
	v_mul_lo_u16 v22, 0xf1, v56
	v_add_co_u32 v1, s1, s2, v1
	v_add_co_ci_u32_e64 v2, s1, s3, v2, s1
	v_and_b32_e32 v56, 0xff, v23
	v_mul_lo_u16 v58, v112, 17
	v_lshrrev_b16 v113, 12, v22
	global_load_dwordx4 v[61:64], v[1:2], off
	v_lshrrev_b16 v114, 12, v57
	v_mul_lo_u16 v22, 0xf1, v56
	v_and_b32_e32 v56, 0xff, v60
	v_sub_nc_u16 v3, v3, v58
	v_mov_b32_e32 v58, 4
	v_mul_lo_u16 v57, v113, 17
	v_lshrrev_b16 v115, 12, v22
	v_mul_lo_u16 v22, v114, 17
	v_mul_lo_u16 v56, 0xf1, v56
	v_cmp_lt_u16_e64 s1, 16, v222
	v_sub_nc_u16 v116, v20, v57
	v_mul_lo_u16 v20, v115, 17
	v_sub_nc_u16 v117, v21, v22
	v_lshlrev_b32_sdwa v21, v58, v3 dst_sel:DWORD dst_unused:UNUSED_PAD src0_sel:DWORD src1_sel:BYTE_0
	v_lshrrev_b16 v22, 12, v56
	v_lshlrev_b32_sdwa v56, v58, v116 dst_sel:DWORD dst_unused:UNUSED_PAD src0_sel:DWORD src1_sel:BYTE_0
	v_sub_nc_u16 v118, v23, v20
	v_lshlrev_b32_sdwa v20, v58, v117 dst_sel:DWORD dst_unused:UNUSED_PAD src0_sel:DWORD src1_sel:BYTE_0
	global_load_dwordx4 v[65:68], v21, s[2:3]
	v_mul_lo_u16 v1, v22, 17
	v_mad_u16 v3, v112, 34, v3
	v_lshlrev_b32_sdwa v2, v58, v118 dst_sel:DWORD dst_unused:UNUSED_PAD src0_sel:DWORD src1_sel:BYTE_0
	s_clause 0x1
	global_load_dwordx4 v[56:59], v56, s[2:3]
	global_load_dwordx4 v[4:7], v20, s[2:3]
	v_sub_nc_u16 v1, v60, v1
	global_load_dwordx4 v[8:11], v2, s[2:3]
	v_and_b32_e32 v218, 0xff, v1
	v_lshlrev_b32_e32 v1, 4, v218
	global_load_dwordx4 v[20:23], v1, s[2:3]
	s_waitcnt vmcnt(5) lgkmcnt(3)
	v_mul_f64 v[1:2], v[90:91], v[63:64]
	v_mul_f64 v[92:93], v[88:89], v[63:64]
	s_waitcnt vmcnt(4)
	v_mul_f64 v[94:95], v[54:55], v[67:68]
	v_mul_f64 v[96:97], v[52:53], v[67:68]
	v_fma_f64 v[1:2], v[88:89], v[61:62], -v[1:2]
	buffer_store_dword v61, off, s[60:63], 0 offset:144 ; 4-byte Folded Spill
	buffer_store_dword v62, off, s[60:63], 0 offset:148 ; 4-byte Folded Spill
	;; [unrolled: 1-line block ×4, first 2 shown]
	s_waitcnt vmcnt(3)
	v_mul_f64 v[98:99], v[78:79], v[58:59]
	s_waitcnt vmcnt(2) lgkmcnt(1)
	v_mul_f64 v[102:103], v[86:87], v[6:7]
	v_mul_f64 v[100:101], v[76:77], v[58:59]
	s_waitcnt vmcnt(1) lgkmcnt(0)
	v_mul_f64 v[106:107], v[82:83], v[10:11]
	v_mul_f64 v[104:105], v[84:85], v[6:7]
	;; [unrolled: 1-line block ×3, first 2 shown]
	s_waitcnt vmcnt(0)
	v_mul_f64 v[110:111], v[30:31], v[22:23]
	v_fma_f64 v[84:85], v[84:85], v[4:5], -v[102:103]
	v_mul_f64 v[102:103], v[28:29], v[22:23]
	v_fma_f64 v[88:89], v[90:91], v[61:62], v[92:93]
	v_fma_f64 v[90:91], v[52:53], v[65:66], -v[94:95]
	buffer_store_dword v65, off, s[60:63], 0 offset:160 ; 4-byte Folded Spill
	buffer_store_dword v66, off, s[60:63], 0 offset:164 ; 4-byte Folded Spill
	;; [unrolled: 1-line block ×4, first 2 shown]
	v_fma_f64 v[94:95], v[76:77], v[56:57], -v[98:99]
	buffer_store_dword v56, off, s[60:63], 0 offset:176 ; 4-byte Folded Spill
	buffer_store_dword v57, off, s[60:63], 0 offset:180 ; 4-byte Folded Spill
	;; [unrolled: 1-line block ×8, first 2 shown]
	v_fma_f64 v[98:99], v[80:81], v[8:9], -v[106:107]
	buffer_store_dword v8, off, s[60:63], 0 offset:128 ; 4-byte Folded Spill
	buffer_store_dword v9, off, s[60:63], 0 offset:132 ; 4-byte Folded Spill
	;; [unrolled: 1-line block ×4, first 2 shown]
	v_add_f64 v[52:53], v[32:33], -v[1:2]
	v_fma_f64 v[1:2], v[30:31], v[20:21], v[102:103]
	v_mov_b32_e32 v106, 34
	s_load_dwordx4 s[4:7], s[6:7], 0x0
	s_waitcnt lgkmcnt(0)
	s_waitcnt_vscnt null, 0x0
	s_barrier
	buffer_gl0_inv
	v_add_f64 v[76:77], v[36:37], -v[90:91]
	v_add_f64 v[80:81], v[44:45], -v[94:95]
	v_fma_f64 v[92:93], v[54:55], v[65:66], v[96:97]
	v_add_f64 v[54:55], v[34:35], -v[88:89]
	v_fma_f64 v[96:97], v[78:79], v[56:57], v[100:101]
	v_fma_f64 v[86:87], v[86:87], v[4:5], v[104:105]
	v_fma_f64 v[104:105], v[28:29], v[20:21], -v[110:111]
	v_fma_f64 v[100:101], v[82:83], v[8:9], v[108:109]
	v_add_f64 v[88:89], v[40:41], -v[84:85]
	v_cndmask_b32_e64 v28, 0, 34, s1
	v_mul_u32_u24_sdwa v29, v113, v106 dst_sel:DWORD dst_unused:UNUSED_PAD src0_sel:WORD_0 src1_sel:DWORD
	v_add_nc_u32_e32 v0, v0, v28
	v_add_lshl_u32 v197, v189, v0, 4
	v_and_b32_e32 v0, 0xff, v3
	v_add_f64 v[78:79], v[38:39], -v[92:93]
	v_add_f64 v[92:93], v[48:49], -v[98:99]
	;; [unrolled: 1-line block ×7, first 2 shown]
	v_add_nc_u32_sdwa v98, v29, v116 dst_sel:DWORD dst_unused:UNUSED_PAD src0_sel:DWORD src1_sel:BYTE_0
	v_fma_f64 v[28:29], v[32:33], 2.0, -v[52:53]
	v_fma_f64 v[30:31], v[34:35], 2.0, -v[54:55]
	;; [unrolled: 1-line block ×5, first 2 shown]
	v_mul_u32_u24_sdwa v96, v114, v106 dst_sel:DWORD dst_unused:UNUSED_PAD src0_sel:WORD_0 src1_sel:DWORD
	v_mul_u32_u24_sdwa v97, v115, v106 dst_sel:DWORD dst_unused:UNUSED_PAD src0_sel:WORD_0 src1_sel:DWORD
	v_add_lshl_u32 v229, v189, v98, 4
	v_add_lshl_u32 v233, v189, v0, 4
	v_add_nc_u32_sdwa v1, v96, v117 dst_sel:DWORD dst_unused:UNUSED_PAD src0_sel:DWORD src1_sel:BYTE_0
	v_add_nc_u32_sdwa v2, v97, v118 dst_sel:DWORD dst_unused:UNUSED_PAD src0_sel:DWORD src1_sel:BYTE_0
	v_fma_f64 v[34:35], v[38:39], 2.0, -v[78:79]
	v_fma_f64 v[44:45], v[48:49], 2.0, -v[92:93]
	;; [unrolled: 1-line block ×4, first 2 shown]
	v_add_lshl_u32 v221, v189, v1, 4
	v_fma_f64 v[46:47], v[50:51], 2.0, -v[94:95]
	v_add_lshl_u32 v230, v189, v2, 4
	ds_write_b128 v197, v[52:55] offset:272
	ds_write_b128 v197, v[28:31]
	ds_write_b128 v233, v[76:79] offset:272
	ds_write_b128 v233, v[32:35]
	ds_write_b128 v229, v[36:39]
	ds_write_b128 v229, v[80:83] offset:272
	ds_write_b128 v221, v[40:43]
	ds_write_b128 v221, v[88:91] offset:272
	ds_write_b128 v230, v[44:47]
	ds_write_b128 v230, v[92:95] offset:272
	s_mov_b32 s1, exec_lo
	s_clause 0x3
	buffer_load_dword v225, off, s[60:63], 0 offset:36
	buffer_load_dword v226, off, s[60:63], 0 offset:40
	;; [unrolled: 1-line block ×4, first 2 shown]
	s_and_b32 s8, s1, s0
	s_mov_b32 exec_lo, s8
	s_cbranch_execz .LBB0_11
; %bb.10:
	v_fma_f64 v[26:27], v[26:27], 2.0, -v[86:87]
	v_fma_f64 v[24:25], v[24:25], 2.0, -v[84:85]
	v_add_lshl_u32 v0, v189, v218, 4
	ds_write_b128 v0, v[24:27] offset:5440
	ds_write_b128 v0, v[84:87] offset:5712
.LBB0_11:
	s_or_b32 exec_lo, exec_lo, s1
	v_mad_u64_u32 v[0:1], null, 0xa0, v222, s[2:3]
	s_waitcnt vmcnt(0) lgkmcnt(0)
	s_barrier
	buffer_gl0_inv
	ds_read_b128 v[92:95], v255
	ds_read_b128 v[36:39], v255 offset:544
	ds_read_b128 v[40:43], v255 offset:1088
	;; [unrolled: 1-line block ×10, first 2 shown]
	s_mov_b32 s28, 0xf8bb580b
	s_mov_b32 s8, 0x43842ef
	s_clause 0x3
	global_load_dwordx4 v[239:242], v[0:1], off offset:320
	global_load_dwordx4 v[243:246], v[0:1], off offset:304
	;; [unrolled: 1-line block ×4, first 2 shown]
	s_mov_b32 s20, 0xbb3a28a1
	s_mov_b32 s26, 0xfd768dbf
	;; [unrolled: 1-line block ×24, first 2 shown]
	s_waitcnt vmcnt(0) lgkmcnt(9)
	v_mul_f64 v[2:3], v[38:39], v[6:7]
	v_fma_f64 v[2:3], v[36:37], v[4:5], -v[2:3]
	v_mul_f64 v[36:37], v[36:37], v[6:7]
	buffer_store_dword v4, off, s[60:63], 0 offset:96 ; 4-byte Folded Spill
	buffer_store_dword v5, off, s[60:63], 0 offset:100 ; 4-byte Folded Spill
	;; [unrolled: 1-line block ×4, first 2 shown]
	v_fma_f64 v[136:137], v[38:39], v[4:5], v[36:37]
	s_clause 0x3
	global_load_dwordx4 v[8:11], v[0:1], off offset:384
	global_load_dwordx4 v[4:7], v[0:1], off offset:368
	;; [unrolled: 1-line block ×4, first 2 shown]
	s_waitcnt lgkmcnt(8)
	v_mul_f64 v[36:37], v[42:43], v[30:31]
	v_fma_f64 v[122:123], v[40:41], v[28:29], -v[36:37]
	v_mul_f64 v[36:37], v[40:41], v[30:31]
	v_fma_f64 v[120:121], v[42:43], v[28:29], v[36:37]
	s_waitcnt lgkmcnt(7)
	v_mul_f64 v[36:37], v[46:47], v[245:246]
	v_fma_f64 v[116:117], v[44:45], v[243:244], -v[36:37]
	v_mul_f64 v[36:37], v[44:45], v[245:246]
	v_fma_f64 v[112:113], v[46:47], v[243:244], v[36:37]
	;; [unrolled: 5-line block ×3, first 2 shown]
	s_waitcnt vmcnt(0) lgkmcnt(5)
	v_mul_f64 v[96:97], v[78:79], v[253:254]
	v_fma_f64 v[100:101], v[76:77], v[251:252], -v[96:97]
	v_mul_f64 v[76:77], v[76:77], v[253:254]
	v_fma_f64 v[96:97], v[78:79], v[251:252], v[76:77]
	s_waitcnt lgkmcnt(4)
	v_mul_f64 v[76:77], v[82:83], v[249:250]
	v_fma_f64 v[102:103], v[80:81], v[247:248], -v[76:77]
	v_mul_f64 v[76:77], v[80:81], v[249:250]
	v_fma_f64 v[98:99], v[82:83], v[247:248], v[76:77]
	s_waitcnt lgkmcnt(3)
	v_mul_f64 v[76:77], v[90:91], v[6:7]
	v_fma_f64 v[110:111], v[88:89], v[4:5], -v[76:77]
	v_mul_f64 v[76:77], v[88:89], v[6:7]
	buffer_store_dword v4, off, s[60:63], 0 offset:64 ; 4-byte Folded Spill
	buffer_store_dword v5, off, s[60:63], 0 offset:68 ; 4-byte Folded Spill
	;; [unrolled: 1-line block ×4, first 2 shown]
	v_fma_f64 v[106:107], v[90:91], v[4:5], v[76:77]
	s_waitcnt lgkmcnt(2)
	v_mul_f64 v[76:77], v[126:127], v[10:11]
	v_add_f64 v[90:91], v[94:95], v[136:137]
	v_fma_f64 v[118:119], v[124:125], v[8:9], -v[76:77]
	v_mul_f64 v[76:77], v[124:125], v[10:11]
	buffer_store_dword v8, off, s[60:63], 0 offset:80 ; 4-byte Folded Spill
	buffer_store_dword v9, off, s[60:63], 0 offset:84 ; 4-byte Folded Spill
	;; [unrolled: 1-line block ×4, first 2 shown]
	v_add_f64 v[90:91], v[90:91], v[120:121]
	v_add_f64 v[90:91], v[90:91], v[112:113]
	;; [unrolled: 1-line block ×6, first 2 shown]
	v_fma_f64 v[114:115], v[126:127], v[8:9], v[76:77]
	s_clause 0x1
	global_load_dwordx4 v[76:79], v[0:1], off offset:416
	global_load_dwordx4 v[80:83], v[0:1], off offset:400
	v_add_f64 v[90:91], v[90:91], v[114:115]
	s_waitcnt vmcnt(1) lgkmcnt(0)
	v_mul_f64 v[88:89], v[132:133], v[78:79]
	s_waitcnt vmcnt(0)
	v_mul_f64 v[0:1], v[130:131], v[82:83]
	v_fma_f64 v[126:127], v[128:129], v[80:81], -v[0:1]
	v_mul_f64 v[0:1], v[128:129], v[82:83]
	v_fma_f64 v[128:129], v[134:135], v[76:77], v[88:89]
	v_add_f64 v[88:89], v[92:93], v[2:3]
	v_fma_f64 v[124:125], v[130:131], v[80:81], v[0:1]
	v_mul_f64 v[0:1], v[134:135], v[78:79]
	v_add_f64 v[88:89], v[88:89], v[122:123]
	v_add_f64 v[90:91], v[90:91], v[124:125]
	v_fma_f64 v[0:1], v[132:133], v[76:77], -v[0:1]
	v_add_f64 v[88:89], v[88:89], v[116:117]
	v_add_f64 v[132:133], v[136:137], v[128:129]
	;; [unrolled: 1-line block ×11, first 2 shown]
	v_add_f64 v[0:1], v[2:3], -v[0:1]
	v_add_f64 v[2:3], v[136:137], -v[128:129]
	v_mul_f64 v[136:137], v[0:1], s[28:29]
	v_mul_f64 v[145:146], v[0:1], s[10:11]
	;; [unrolled: 1-line block ×10, first 2 shown]
	v_fma_f64 v[138:139], v[132:133], s[18:19], v[136:137]
	v_fma_f64 v[136:137], v[132:133], s[18:19], -v[136:137]
	v_fma_f64 v[147:148], v[132:133], s[16:17], v[145:146]
	v_fma_f64 v[145:146], v[132:133], s[16:17], -v[145:146]
	;; [unrolled: 2-line block ×5, first 2 shown]
	v_fma_f64 v[134:135], v[130:131], s[18:19], -v[128:129]
	v_fma_f64 v[128:129], v[130:131], s[18:19], v[128:129]
	v_fma_f64 v[143:144], v[130:131], s[16:17], -v[141:142]
	v_fma_f64 v[141:142], v[130:131], s[16:17], v[141:142]
	;; [unrolled: 2-line block ×5, first 2 shown]
	v_add_f64 v[138:139], v[94:95], v[138:139]
	v_add_f64 v[136:137], v[94:95], v[136:137]
	;; [unrolled: 1-line block ×11, first 2 shown]
	v_add_f64 v[120:121], v[120:121], -v[124:125]
	v_add_f64 v[134:135], v[92:93], v[134:135]
	v_add_f64 v[128:129], v[92:93], v[128:129]
	;; [unrolled: 1-line block ×11, first 2 shown]
	v_add_f64 v[122:123], v[122:123], -v[126:127]
	v_mul_f64 v[124:125], v[120:121], s[10:11]
	v_mul_f64 v[130:131], v[122:123], s[10:11]
	s_mov_b32 s11, 0x3fed1bb4
	v_fma_f64 v[126:127], v[92:93], s[16:17], -v[124:125]
	v_fma_f64 v[124:125], v[92:93], s[16:17], v[124:125]
	v_fma_f64 v[132:133], v[94:95], s[16:17], v[130:131]
	v_add_f64 v[126:127], v[126:127], v[134:135]
	v_add_f64 v[124:125], v[124:125], v[128:129]
	v_fma_f64 v[128:129], v[94:95], s[16:17], -v[130:131]
	v_mul_f64 v[130:131], v[120:121], s[20:21]
	v_add_f64 v[132:133], v[132:133], v[138:139]
	v_add_f64 v[128:129], v[128:129], v[136:137]
	v_fma_f64 v[134:135], v[92:93], s[22:23], -v[130:131]
	v_fma_f64 v[130:131], v[92:93], s[22:23], v[130:131]
	v_mul_f64 v[136:137], v[122:123], s[20:21]
	v_add_f64 v[134:135], v[134:135], v[143:144]
	v_add_f64 v[130:131], v[130:131], v[141:142]
	v_mul_f64 v[141:142], v[120:121], s[36:37]
	v_fma_f64 v[138:139], v[94:95], s[22:23], v[136:137]
	v_fma_f64 v[136:137], v[94:95], s[22:23], -v[136:137]
	v_fma_f64 v[143:144], v[92:93], s[24:25], -v[141:142]
	v_fma_f64 v[141:142], v[92:93], s[24:25], v[141:142]
	v_add_f64 v[136:137], v[136:137], v[145:146]
	v_mul_f64 v[145:146], v[122:123], s[36:37]
	v_add_f64 v[138:139], v[138:139], v[147:148]
	v_add_f64 v[143:144], v[143:144], v[151:152]
	;; [unrolled: 1-line block ×3, first 2 shown]
	v_mul_f64 v[149:150], v[120:121], s[34:35]
	v_fma_f64 v[147:148], v[94:95], s[24:25], v[145:146]
	v_fma_f64 v[145:146], v[94:95], s[24:25], -v[145:146]
	v_mul_f64 v[120:121], v[120:121], s[30:31]
	v_fma_f64 v[151:152], v[92:93], s[2:3], -v[149:150]
	v_fma_f64 v[149:150], v[92:93], s[2:3], v[149:150]
	v_add_f64 v[145:146], v[145:146], v[153:154]
	v_mul_f64 v[153:154], v[122:123], s[34:35]
	v_mul_f64 v[122:123], v[122:123], s[30:31]
	v_add_f64 v[147:148], v[147:148], v[155:156]
	v_add_f64 v[151:152], v[151:152], v[159:160]
	;; [unrolled: 1-line block ×3, first 2 shown]
	v_fma_f64 v[157:158], v[92:93], s[18:19], -v[120:121]
	v_fma_f64 v[92:93], v[92:93], s[18:19], v[120:121]
	v_fma_f64 v[155:156], v[94:95], s[2:3], v[153:154]
	v_fma_f64 v[153:154], v[94:95], s[2:3], -v[153:154]
	v_fma_f64 v[159:160], v[94:95], s[18:19], v[122:123]
	v_add_f64 v[157:158], v[157:158], v[165:166]
	v_add_f64 v[2:3], v[92:93], v[2:3]
	v_fma_f64 v[92:93], v[94:95], s[18:19], -v[122:123]
	v_add_f64 v[94:95], v[112:113], v[114:115]
	v_add_f64 v[112:113], v[112:113], -v[114:115]
	v_add_f64 v[153:154], v[153:154], v[161:162]
	v_add_f64 v[155:156], v[155:156], v[163:164]
	;; [unrolled: 1-line block ×5, first 2 shown]
	v_mul_f64 v[114:115], v[112:113], s[8:9]
	v_add_f64 v[116:117], v[116:117], -v[118:119]
	v_fma_f64 v[118:119], v[92:93], s[2:3], -v[114:115]
	v_fma_f64 v[114:115], v[92:93], s[2:3], v[114:115]
	v_mul_f64 v[120:121], v[116:117], s[8:9]
	v_add_f64 v[118:119], v[118:119], v[126:127]
	v_add_f64 v[114:115], v[114:115], v[124:125]
	v_mul_f64 v[124:125], v[112:113], s[36:37]
	v_fma_f64 v[122:123], v[94:95], s[2:3], v[120:121]
	v_fma_f64 v[120:121], v[94:95], s[2:3], -v[120:121]
	v_fma_f64 v[126:127], v[92:93], s[24:25], -v[124:125]
	v_fma_f64 v[124:125], v[92:93], s[24:25], v[124:125]
	v_add_f64 v[120:121], v[120:121], v[128:129]
	v_mul_f64 v[128:129], v[116:117], s[36:37]
	v_add_f64 v[122:123], v[122:123], v[132:133]
	v_add_f64 v[126:127], v[126:127], v[134:135]
	;; [unrolled: 1-line block ×3, first 2 shown]
	v_mul_f64 v[130:131], v[112:113], s[10:11]
	v_fma_f64 v[132:133], v[94:95], s[24:25], v[128:129]
	v_fma_f64 v[128:129], v[94:95], s[24:25], -v[128:129]
	v_fma_f64 v[134:135], v[92:93], s[16:17], -v[130:131]
	v_fma_f64 v[130:131], v[92:93], s[16:17], v[130:131]
	v_add_f64 v[128:129], v[128:129], v[136:137]
	v_mul_f64 v[136:137], v[116:117], s[10:11]
	v_add_f64 v[132:133], v[132:133], v[138:139]
	v_add_f64 v[134:135], v[134:135], v[143:144]
	;; [unrolled: 1-line block ×3, first 2 shown]
	v_mul_f64 v[141:142], v[112:113], s[28:29]
	v_fma_f64 v[138:139], v[94:95], s[16:17], v[136:137]
	v_fma_f64 v[136:137], v[94:95], s[16:17], -v[136:137]
	v_mul_f64 v[112:113], v[112:113], s[20:21]
	v_fma_f64 v[143:144], v[92:93], s[18:19], -v[141:142]
	v_fma_f64 v[141:142], v[92:93], s[18:19], v[141:142]
	v_add_f64 v[136:137], v[136:137], v[145:146]
	v_mul_f64 v[145:146], v[116:117], s[28:29]
	v_mul_f64 v[116:117], v[116:117], s[20:21]
	v_add_f64 v[138:139], v[138:139], v[147:148]
	v_add_f64 v[143:144], v[143:144], v[151:152]
	;; [unrolled: 1-line block ×3, first 2 shown]
	v_fma_f64 v[149:150], v[92:93], s[22:23], -v[112:113]
	v_fma_f64 v[92:93], v[92:93], s[22:23], v[112:113]
	v_fma_f64 v[147:148], v[94:95], s[18:19], v[145:146]
	v_fma_f64 v[145:146], v[94:95], s[18:19], -v[145:146]
	v_fma_f64 v[151:152], v[94:95], s[22:23], v[116:117]
	v_add_f64 v[149:150], v[149:150], v[157:158]
	v_add_f64 v[2:3], v[92:93], v[2:3]
	v_fma_f64 v[92:93], v[94:95], s[22:23], -v[116:117]
	v_add_f64 v[94:95], v[104:105], v[106:107]
	v_add_f64 v[104:105], v[104:105], -v[106:107]
	v_add_f64 v[145:146], v[145:146], v[153:154]
	v_add_f64 v[147:148], v[147:148], v[155:156]
	;; [unrolled: 1-line block ×5, first 2 shown]
	v_mul_f64 v[106:107], v[104:105], s[20:21]
	v_add_f64 v[108:109], v[108:109], -v[110:111]
	v_fma_f64 v[110:111], v[92:93], s[22:23], -v[106:107]
	v_fma_f64 v[106:107], v[92:93], s[22:23], v[106:107]
	v_mul_f64 v[112:113], v[108:109], s[20:21]
	v_add_f64 v[110:111], v[110:111], v[118:119]
	v_add_f64 v[106:107], v[106:107], v[114:115]
	v_mul_f64 v[114:115], v[104:105], s[34:35]
	v_fma_f64 v[116:117], v[94:95], s[22:23], v[112:113]
	v_fma_f64 v[112:113], v[94:95], s[22:23], -v[112:113]
	v_fma_f64 v[118:119], v[92:93], s[2:3], -v[114:115]
	v_fma_f64 v[114:115], v[92:93], s[2:3], v[114:115]
	v_add_f64 v[112:113], v[112:113], v[120:121]
	v_mul_f64 v[120:121], v[108:109], s[34:35]
	v_add_f64 v[116:117], v[116:117], v[122:123]
	v_add_f64 v[118:119], v[118:119], v[126:127]
	v_add_f64 v[114:115], v[114:115], v[124:125]
	v_mul_f64 v[124:125], v[104:105], s[28:29]
	v_fma_f64 v[122:123], v[94:95], s[2:3], v[120:121]
	v_fma_f64 v[120:121], v[94:95], s[2:3], -v[120:121]
	v_fma_f64 v[126:127], v[92:93], s[18:19], -v[124:125]
	v_fma_f64 v[124:125], v[92:93], s[18:19], v[124:125]
	v_add_f64 v[120:121], v[120:121], v[128:129]
	v_add_f64 v[122:123], v[122:123], v[132:133]
	;; [unrolled: 1-line block ×4, first 2 shown]
	v_mul_f64 v[126:127], v[108:109], s[28:29]
	v_add_f64 v[155:156], v[124:125], v[130:131]
	v_add_f64 v[134:135], v[100:101], v[102:103]
	v_fma_f64 v[124:125], v[94:95], s[18:19], -v[126:127]
	v_fma_f64 v[128:129], v[94:95], s[18:19], v[126:127]
	v_add_f64 v[157:158], v[124:125], v[136:137]
	v_mul_f64 v[124:125], v[104:105], s[26:27]
	v_mul_f64 v[104:105], v[104:105], s[10:11]
	v_add_f64 v[138:139], v[128:129], v[138:139]
	v_add_f64 v[136:137], v[100:101], -v[102:103]
	v_fma_f64 v[126:127], v[92:93], s[24:25], -v[124:125]
	v_fma_f64 v[124:125], v[92:93], s[24:25], v[124:125]
	v_mul_f64 v[102:103], v[136:137], s[30:31]
	v_add_f64 v[143:144], v[126:127], v[143:144]
	v_mul_f64 v[126:127], v[108:109], s[26:27]
	v_add_f64 v[141:142], v[124:125], v[141:142]
	v_mul_f64 v[108:109], v[108:109], s[10:11]
	v_fma_f64 v[124:125], v[94:95], s[24:25], -v[126:127]
	v_fma_f64 v[128:129], v[94:95], s[24:25], v[126:127]
	v_fma_f64 v[126:127], v[94:95], s[16:17], v[108:109]
	v_add_f64 v[145:146], v[124:125], v[145:146]
	v_fma_f64 v[124:125], v[92:93], s[16:17], -v[104:105]
	v_fma_f64 v[92:93], v[92:93], s[16:17], v[104:105]
	v_add_f64 v[147:148], v[128:129], v[147:148]
	v_add_f64 v[126:127], v[126:127], v[151:152]
	;; [unrolled: 1-line block ×4, first 2 shown]
	v_fma_f64 v[2:3], v[94:95], s[16:17], -v[108:109]
	v_mul_f64 v[94:95], v[136:137], s[26:27]
	v_add_f64 v[130:131], v[2:3], v[0:1]
	v_add_f64 v[0:1], v[96:97], -v[98:99]
	v_mul_f64 v[2:3], v[0:1], s[26:27]
	v_fma_f64 v[92:93], v[134:135], s[24:25], -v[2:3]
	v_fma_f64 v[2:3], v[134:135], s[24:25], v[2:3]
	v_add_f64 v[96:97], v[92:93], v[110:111]
	v_fma_f64 v[92:93], v[132:133], s[24:25], v[94:95]
	v_add_f64 v[98:99], v[92:93], v[116:117]
	v_add_f64 v[92:93], v[2:3], v[106:107]
	v_fma_f64 v[2:3], v[132:133], s[24:25], -v[94:95]
	v_mul_f64 v[106:107], v[136:137], s[20:21]
	v_add_f64 v[94:95], v[2:3], v[112:113]
	v_mul_f64 v[2:3], v[0:1], s[30:31]
	v_fma_f64 v[100:101], v[134:135], s[18:19], -v[2:3]
	v_fma_f64 v[2:3], v[134:135], s[18:19], v[2:3]
	v_add_f64 v[108:109], v[100:101], v[118:119]
	v_fma_f64 v[100:101], v[132:133], s[18:19], v[102:103]
	v_add_f64 v[110:111], v[100:101], v[122:123]
	v_add_f64 v[100:101], v[2:3], v[114:115]
	v_fma_f64 v[2:3], v[132:133], s[18:19], -v[102:103]
	v_mul_f64 v[114:115], v[136:137], s[10:11]
	v_add_f64 v[102:103], v[2:3], v[120:121]
	v_mul_f64 v[2:3], v[0:1], s[20:21]
	v_fma_f64 v[104:105], v[134:135], s[22:23], -v[2:3]
	v_fma_f64 v[2:3], v[134:135], s[22:23], v[2:3]
	v_add_f64 v[120:121], v[104:105], v[153:154]
	v_fma_f64 v[104:105], v[132:133], s[22:23], v[106:107]
	v_add_f64 v[122:123], v[104:105], v[138:139]
	v_add_f64 v[104:105], v[2:3], v[155:156]
	v_fma_f64 v[2:3], v[132:133], s[22:23], -v[106:107]
	v_add_f64 v[106:107], v[2:3], v[157:158]
	v_mul_f64 v[2:3], v[0:1], s[10:11]
	v_mul_f64 v[0:1], v[0:1], s[8:9]
	v_fma_f64 v[112:113], v[134:135], s[16:17], -v[2:3]
	v_fma_f64 v[2:3], v[134:135], s[16:17], v[2:3]
	v_add_f64 v[116:117], v[112:113], v[143:144]
	v_fma_f64 v[112:113], v[132:133], s[16:17], v[114:115]
	v_add_f64 v[118:119], v[112:113], v[147:148]
	v_add_f64 v[112:113], v[2:3], v[141:142]
	v_fma_f64 v[2:3], v[132:133], s[16:17], -v[114:115]
	v_add_f64 v[114:115], v[2:3], v[145:146]
	v_fma_f64 v[2:3], v[134:135], s[2:3], -v[0:1]
	v_fma_f64 v[0:1], v[134:135], s[2:3], v[0:1]
	v_add_f64 v[124:125], v[2:3], v[124:125]
	v_mul_f64 v[2:3], v[136:137], s[8:9]
	v_add_f64 v[128:129], v[0:1], v[128:129]
	v_fma_f64 v[0:1], v[132:133], s[2:3], -v[2:3]
	v_fma_f64 v[136:137], v[132:133], s[2:3], v[2:3]
	v_add_f64 v[130:131], v[0:1], v[130:131]
	buffer_load_dword v0, off, s[60:63], 0 offset:32 ; 4-byte Folded Reload
	v_add_f64 v[126:127], v[136:137], v[126:127]
	s_waitcnt vmcnt(0)
	v_lshl_add_u32 v217, v222, 4, v0
	ds_write_b128 v217, v[88:91]
	ds_write_b128 v217, v[96:99] offset:544
	ds_write_b128 v217, v[108:111] offset:1088
	;; [unrolled: 1-line block ×10, first 2 shown]
	s_waitcnt lgkmcnt(0)
	s_waitcnt_vscnt null, 0x0
	s_barrier
	buffer_gl0_inv
	s_and_saveexec_b32 s8, vcc_lo
	s_cbranch_execz .LBB0_13
; %bb.12:
	v_lshlrev_b32_e32 v147, 4, v222
	s_add_u32 s2, s12, 0x1760
	s_addc_u32 s3, s13, 0
	ds_read_b128 v[132:135], v217
	global_load_dwordx4 v[136:139], v147, s[2:3]
	v_add_co_u32 v145, s1, s2, v147
	v_add_co_ci_u32_e64 v146, null, s3, 0, s1
	s_waitcnt vmcnt(0) lgkmcnt(0)
	v_mul_f64 v[0:1], v[134:135], v[138:139]
	v_fma_f64 v[141:142], v[132:133], v[136:137], -v[0:1]
	v_mul_f64 v[0:1], v[132:133], v[138:139]
	v_fma_f64 v[143:144], v[134:135], v[136:137], v[0:1]
	global_load_dwordx4 v[136:139], v147, s[2:3] offset:352
	ds_read_b128 v[132:135], v217 offset:352
	ds_write_b128 v217, v[141:144]
	s_waitcnt vmcnt(0) lgkmcnt(1)
	v_mul_f64 v[0:1], v[134:135], v[138:139]
	v_fma_f64 v[141:142], v[132:133], v[136:137], -v[0:1]
	v_mul_f64 v[0:1], v[132:133], v[138:139]
	v_fma_f64 v[143:144], v[134:135], v[136:137], v[0:1]
	global_load_dwordx4 v[136:139], v147, s[2:3] offset:704
	ds_read_b128 v[132:135], v217 offset:704
	ds_write_b128 v217, v[141:144] offset:352
	s_waitcnt vmcnt(0) lgkmcnt(1)
	v_mul_f64 v[0:1], v[134:135], v[138:139]
	v_fma_f64 v[141:142], v[132:133], v[136:137], -v[0:1]
	v_mul_f64 v[0:1], v[132:133], v[138:139]
	v_fma_f64 v[143:144], v[134:135], v[136:137], v[0:1]
	global_load_dwordx4 v[136:139], v147, s[2:3] offset:1056
	ds_read_b128 v[132:135], v217 offset:1056
	ds_write_b128 v217, v[141:144] offset:704
	;; [unrolled: 8-line block ×4, first 2 shown]
	s_waitcnt vmcnt(0) lgkmcnt(1)
	v_mul_f64 v[0:1], v[134:135], v[138:139]
	v_fma_f64 v[141:142], v[132:133], v[136:137], -v[0:1]
	v_mul_f64 v[0:1], v[132:133], v[138:139]
	v_fma_f64 v[143:144], v[134:135], v[136:137], v[0:1]
	v_add_co_u32 v0, s1, 0x800, v145
	v_add_co_ci_u32_e64 v1, s1, 0, v146, s1
	ds_read_b128 v[132:135], v217 offset:2112
	global_load_dwordx4 v[136:139], v[0:1], off offset:64
	ds_write_b128 v217, v[141:144] offset:1760
	s_waitcnt vmcnt(0) lgkmcnt(1)
	v_mul_f64 v[2:3], v[134:135], v[138:139]
	v_fma_f64 v[141:142], v[132:133], v[136:137], -v[2:3]
	v_mul_f64 v[2:3], v[132:133], v[138:139]
	v_fma_f64 v[143:144], v[134:135], v[136:137], v[2:3]
	global_load_dwordx4 v[136:139], v[0:1], off offset:416
	ds_read_b128 v[132:135], v217 offset:2464
	ds_write_b128 v217, v[141:144] offset:2112
	s_waitcnt vmcnt(0) lgkmcnt(1)
	v_mul_f64 v[2:3], v[134:135], v[138:139]
	v_fma_f64 v[141:142], v[132:133], v[136:137], -v[2:3]
	v_mul_f64 v[2:3], v[132:133], v[138:139]
	v_fma_f64 v[143:144], v[134:135], v[136:137], v[2:3]
	global_load_dwordx4 v[136:139], v[0:1], off offset:768
	ds_read_b128 v[132:135], v217 offset:2816
	ds_write_b128 v217, v[141:144] offset:2464
	s_waitcnt vmcnt(0) lgkmcnt(1)
	v_mul_f64 v[2:3], v[134:135], v[138:139]
	v_fma_f64 v[141:142], v[132:133], v[136:137], -v[2:3]
	v_mul_f64 v[2:3], v[132:133], v[138:139]
	v_fma_f64 v[143:144], v[134:135], v[136:137], v[2:3]
	global_load_dwordx4 v[136:139], v[0:1], off offset:1120
	ds_read_b128 v[132:135], v217 offset:3168
	ds_write_b128 v217, v[141:144] offset:2816
	s_waitcnt vmcnt(0) lgkmcnt(1)
	v_mul_f64 v[2:3], v[134:135], v[138:139]
	v_fma_f64 v[141:142], v[132:133], v[136:137], -v[2:3]
	v_mul_f64 v[2:3], v[132:133], v[138:139]
	v_fma_f64 v[143:144], v[134:135], v[136:137], v[2:3]
	global_load_dwordx4 v[136:139], v[0:1], off offset:1472
	ds_read_b128 v[132:135], v217 offset:3520
	ds_write_b128 v217, v[141:144] offset:3168
	s_waitcnt vmcnt(0) lgkmcnt(1)
	v_mul_f64 v[2:3], v[134:135], v[138:139]
	v_fma_f64 v[141:142], v[132:133], v[136:137], -v[2:3]
	v_mul_f64 v[2:3], v[132:133], v[138:139]
	v_fma_f64 v[143:144], v[134:135], v[136:137], v[2:3]
	global_load_dwordx4 v[136:139], v[0:1], off offset:1824
	ds_read_b128 v[132:135], v217 offset:3872
	ds_write_b128 v217, v[141:144] offset:3520
	s_waitcnt vmcnt(0) lgkmcnt(1)
	v_mul_f64 v[0:1], v[134:135], v[138:139]
	v_fma_f64 v[141:142], v[132:133], v[136:137], -v[0:1]
	v_mul_f64 v[0:1], v[132:133], v[138:139]
	v_fma_f64 v[143:144], v[134:135], v[136:137], v[0:1]
	v_add_co_u32 v0, s1, 0x1000, v145
	v_add_co_ci_u32_e64 v1, s1, 0, v146, s1
	ds_read_b128 v[132:135], v217 offset:4224
	global_load_dwordx4 v[136:139], v[0:1], off offset:128
	ds_write_b128 v217, v[141:144] offset:3872
	s_waitcnt vmcnt(0) lgkmcnt(1)
	v_mul_f64 v[2:3], v[134:135], v[138:139]
	v_fma_f64 v[141:142], v[132:133], v[136:137], -v[2:3]
	v_mul_f64 v[2:3], v[132:133], v[138:139]
	v_fma_f64 v[143:144], v[134:135], v[136:137], v[2:3]
	global_load_dwordx4 v[136:139], v[0:1], off offset:480
	ds_read_b128 v[132:135], v217 offset:4576
	ds_write_b128 v217, v[141:144] offset:4224
	s_waitcnt vmcnt(0) lgkmcnt(1)
	v_mul_f64 v[2:3], v[134:135], v[138:139]
	v_fma_f64 v[141:142], v[132:133], v[136:137], -v[2:3]
	v_mul_f64 v[2:3], v[132:133], v[138:139]
	v_fma_f64 v[143:144], v[134:135], v[136:137], v[2:3]
	global_load_dwordx4 v[136:139], v[0:1], off offset:832
	ds_read_b128 v[132:135], v217 offset:4928
	;; [unrolled: 8-line block ×3, first 2 shown]
	ds_write_b128 v217, v[141:144] offset:4928
	s_waitcnt vmcnt(0) lgkmcnt(1)
	v_mul_f64 v[0:1], v[134:135], v[138:139]
	v_fma_f64 v[141:142], v[132:133], v[136:137], -v[0:1]
	v_mul_f64 v[0:1], v[132:133], v[138:139]
	v_fma_f64 v[143:144], v[134:135], v[136:137], v[0:1]
	v_or_b32_e32 v0, 0x1600, v147
	ds_read_b128 v[132:135], v217 offset:5632
	global_load_dwordx4 v[136:139], v0, s[2:3]
	ds_write_b128 v217, v[141:144] offset:5280
	s_waitcnt vmcnt(0) lgkmcnt(1)
	v_mul_f64 v[0:1], v[134:135], v[138:139]
	v_fma_f64 v[141:142], v[132:133], v[136:137], -v[0:1]
	v_mul_f64 v[0:1], v[132:133], v[138:139]
	v_fma_f64 v[143:144], v[134:135], v[136:137], v[0:1]
	ds_write_b128 v217, v[141:144] offset:5632
.LBB0_13:
	s_or_b32 exec_lo, exec_lo, s8
	s_waitcnt lgkmcnt(0)
	s_barrier
	buffer_gl0_inv
	s_and_saveexec_b32 s1, vcc_lo
	s_cbranch_execz .LBB0_15
; %bb.14:
	ds_read_b128 v[88:91], v217
	ds_read_b128 v[96:99], v217 offset:352
	ds_read_b128 v[108:111], v217 offset:704
	;; [unrolled: 1-line block ×14, first 2 shown]
	s_waitcnt lgkmcnt(0)
	buffer_store_dword v0, off, s[60:63], 0 offset:16 ; 4-byte Folded Spill
	buffer_store_dword v1, off, s[60:63], 0 offset:20 ; 4-byte Folded Spill
	;; [unrolled: 1-line block ×4, first 2 shown]
	ds_read_b128 v[0:3], v217 offset:5280
	s_waitcnt lgkmcnt(0)
	buffer_store_dword v0, off, s[60:63], 0 ; 4-byte Folded Spill
	buffer_store_dword v1, off, s[60:63], 0 offset:4 ; 4-byte Folded Spill
	buffer_store_dword v2, off, s[60:63], 0 offset:8 ; 4-byte Folded Spill
	;; [unrolled: 1-line block ×3, first 2 shown]
	ds_read_b128 v[225:228], v217 offset:5632
.LBB0_15:
	s_or_b32 exec_lo, exec_lo, s1
	s_clause 0x3
	buffer_load_dword v2, off, s[60:63], 0
	buffer_load_dword v3, off, s[60:63], 0 offset:4
	buffer_load_dword v4, off, s[60:63], 0 offset:8
	buffer_load_dword v5, off, s[60:63], 0 offset:12
	v_add_f64 v[183:184], v[130:131], -v[86:87]
	s_mov_b32 s42, 0x2a9d6da3
	s_mov_b32 s43, 0xbfe58eea
	s_waitcnt lgkmcnt(0)
	v_add_f64 v[211:212], v[98:99], -v[227:228]
	v_add_f64 v[213:214], v[98:99], v[227:228]
	s_mov_b32 s2, 0x6c9a05f6
	s_mov_b32 s8, 0x6ed5f1bb
	;; [unrolled: 1-line block ×4, first 2 shown]
	v_add_f64 v[209:210], v[96:97], v[225:226]
	v_add_f64 v[219:220], v[96:97], -v[225:226]
	s_mov_b32 s16, 0x923c349f
	s_mov_b32 s20, 0xc61f0d01
	;; [unrolled: 1-line block ×8, first 2 shown]
	v_add_f64 v[157:158], v[118:119], -v[14:15]
	v_add_f64 v[159:160], v[118:119], v[14:15]
	s_mov_b32 s22, 0x4363dd80
	v_mul_f64 v[8:9], v[183:184], s[42:43]
	s_mov_b32 s18, 0x910ea3b9
	s_mov_b32 s23, 0xbfe0d888
	v_mul_f64 v[223:224], v[211:212], s[2:3]
	v_mul_f64 v[231:232], v[213:214], s[8:9]
	s_mov_b32 s19, 0xbfeb34fa
	v_add_f64 v[155:156], v[116:117], v[12:13]
	v_add_f64 v[163:164], v[116:117], -v[12:13]
	v_add_f64 v[171:172], v[126:127], -v[18:19]
	s_mov_b32 s34, 0xeb564b22
	s_mov_b32 s35, 0xbfefdd0d
	;; [unrolled: 1-line block ×4, first 2 shown]
	v_add_f64 v[165:166], v[124:125], v[16:17]
	v_add_f64 v[169:170], v[126:127], v[18:19]
	s_mov_b32 s26, 0x3259b75e
	s_mov_b32 s27, 0x3fb79ee6
	v_add_f64 v[181:182], v[124:125], -v[16:17]
	v_add_f64 v[167:168], v[128:129], v[84:85]
	v_add_f64 v[177:178], v[130:131], v[86:87]
	v_mul_f64 v[24:25], v[159:160], s[18:19]
	s_mov_b32 s24, 0x75d4884
	s_mov_b32 s25, 0x3fe7a5f6
	v_add_f64 v[187:188], v[128:129], -v[84:85]
	v_add_f64 v[189:190], v[114:115], -v[94:95]
	v_fma_f64 v[0:1], v[209:210], s[8:9], -v[223:224]
	s_mov_b32 s36, 0xacd6c6b4
	s_mov_b32 s37, 0xbfc7851a
	v_add_f64 v[173:174], v[112:113], v[92:93]
	v_add_f64 v[185:186], v[114:115], v[94:95]
	v_mul_f64 v[26:27], v[171:172], s[46:47]
	s_mov_b32 s28, 0x7faef3
	s_mov_b32 s29, 0xbfef7484
	v_add_f64 v[193:194], v[112:113], -v[92:93]
	v_add_f64 v[191:192], v[106:107], -v[102:103]
	s_mov_b32 s40, 0x7c9e640b
	v_mul_f64 v[237:238], v[169:170], s[26:27]
	s_mov_b32 s41, 0x3feca52d
	v_add_f64 v[175:176], v[104:105], v[100:101]
	v_add_f64 v[179:180], v[106:107], v[102:103]
	s_mov_b32 s38, 0x2b2883cd
	v_mul_f64 v[70:71], v[177:178], s[24:25]
	s_mov_b32 s39, 0x3fdc86fa
	v_add_f64 v[195:196], v[104:105], -v[100:101]
	v_mul_f64 v[207:208], v[211:212], s[22:23]
	v_mul_f64 v[215:216], v[213:214], s[18:19]
	;; [unrolled: 1-line block ×3, first 2 shown]
	v_add_f64 v[0:1], v[88:89], v[0:1]
	s_mov_b32 s51, 0x3fe9895b
	s_mov_b32 s50, s2
	v_mul_f64 v[50:51], v[159:160], s[8:9]
	v_mul_f64 v[200:201], v[185:186], s[28:29]
	;; [unrolled: 1-line block ×7, first 2 shown]
	s_mov_b32 s45, 0x3fe58eea
	s_mov_b32 s44, s42
	v_mul_f64 v[48:49], v[185:186], s[24:25]
	v_mul_f64 v[46:47], v[189:190], s[44:45]
	;; [unrolled: 1-line block ×3, first 2 shown]
	s_mov_b32 s49, 0xbfeec746
	s_mov_b32 s48, s16
	v_mul_f64 v[74:75], v[179:180], s[20:21]
	v_mul_f64 v[56:57], v[191:192], s[48:49]
	s_waitcnt vmcnt(0)
	v_add_f64 v[143:144], v[110:111], -v[4:5]
	v_add_f64 v[145:146], v[110:111], v[4:5]
	s_clause 0x3
	buffer_load_dword v4, off, s[60:63], 0 offset:16
	buffer_load_dword v5, off, s[60:63], 0 offset:20
	buffer_load_dword v6, off, s[60:63], 0 offset:24
	buffer_load_dword v7, off, s[60:63], 0 offset:28
	buffer_store_dword v8, off, s[60:63], 0 offset:36 ; 4-byte Folded Spill
	buffer_store_dword v9, off, s[60:63], 0 offset:40 ; 4-byte Folded Spill
	v_add_f64 v[141:142], v[108:109], v[2:3]
	v_add_f64 v[153:154], v[108:109], -v[2:3]
	v_fma_f64 v[2:3], v[219:220], s[2:3], v[231:232]
	s_waitcnt vmcnt(0)
	s_waitcnt_vscnt null, 0x0
	s_barrier
	buffer_gl0_inv
	v_mul_f64 v[234:235], v[143:144], s[16:17]
	v_mul_f64 v[205:206], v[145:146], s[20:21]
	;; [unrolled: 1-line block ×4, first 2 shown]
	v_add_f64 v[2:3], v[90:91], v[2:3]
	v_fma_f64 v[132:133], v[141:142], s[20:21], -v[234:235]
	v_fma_f64 v[134:135], v[153:154], s[16:17], v[205:206]
	v_add_f64 v[0:1], v[132:133], v[0:1]
	v_add_f64 v[2:3], v[134:135], v[2:3]
	v_add_f64 v[147:148], v[122:123], -v[6:7]
	v_add_f64 v[151:152], v[122:123], v[6:7]
	v_add_f64 v[149:150], v[120:121], v[4:5]
	v_add_f64 v[161:162], v[120:121], -v[4:5]
	v_mul_f64 v[6:7], v[157:158], s[22:23]
	v_mul_f64 v[203:204], v[147:148], s[30:31]
	;; [unrolled: 1-line block ×5, first 2 shown]
	v_fma_f64 v[134:135], v[155:156], s[18:19], -v[6:7]
	v_fma_f64 v[136:137], v[149:150], s[10:11], -v[203:204]
	v_fma_f64 v[132:133], v[161:162], s[30:31], v[4:5]
	v_add_f64 v[0:1], v[136:137], v[0:1]
	v_add_f64 v[2:3], v[132:133], v[2:3]
	v_fma_f64 v[132:133], v[163:164], s[22:23], v[24:25]
	v_fma_f64 v[136:137], v[153:154], s[40:41], v[40:41]
	v_add_f64 v[0:1], v[134:135], v[0:1]
	v_add_f64 v[2:3], v[132:133], v[2:3]
	v_fma_f64 v[132:133], v[165:166], s[26:27], -v[26:27]
	v_add_f64 v[0:1], v[132:133], v[0:1]
	v_fma_f64 v[132:133], v[181:182], s[46:47], v[237:238]
	v_add_f64 v[2:3], v[132:133], v[2:3]
	v_fma_f64 v[132:133], v[167:168], s[24:25], -v[8:9]
	v_mul_f64 v[8:9], v[191:192], s[40:41]
	v_add_f64 v[0:1], v[132:133], v[0:1]
	v_fma_f64 v[132:133], v[187:188], s[42:43], v[70:71]
	v_add_f64 v[2:3], v[132:133], v[2:3]
	v_fma_f64 v[132:133], v[173:174], s[28:29], -v[72:73]
	v_add_f64 v[0:1], v[132:133], v[0:1]
	v_fma_f64 v[132:133], v[193:194], s[36:37], v[200:201]
	v_add_f64 v[2:3], v[132:133], v[2:3]
	v_fma_f64 v[132:133], v[175:176], s[38:39], -v[8:9]
	;; [unrolled: 4-line block ×3, first 2 shown]
	v_fma_f64 v[2:3], v[141:142], s[38:39], -v[32:33]
	v_add_f64 v[0:1], v[88:89], v[0:1]
	v_add_f64 v[0:1], v[2:3], v[0:1]
	v_fma_f64 v[2:3], v[219:220], s[22:23], v[215:216]
	v_add_f64 v[2:3], v[90:91], v[2:3]
	v_add_f64 v[2:3], v[136:137], v[2:3]
	v_fma_f64 v[136:137], v[149:150], s[26:27], -v[36:37]
	v_add_f64 v[0:1], v[136:137], v[0:1]
	v_fma_f64 v[136:137], v[161:162], s[34:35], v[42:43]
	v_add_f64 v[2:3], v[136:137], v[2:3]
	v_fma_f64 v[136:137], v[155:156], s[8:9], -v[38:39]
	v_add_f64 v[0:1], v[136:137], v[0:1]
	v_fma_f64 v[136:137], v[163:164], s[50:51], v[50:51]
	;; [unrolled: 4-line block ×6, first 2 shown]
	v_add_f64 v[138:139], v[0:1], v[2:3]
	s_and_saveexec_b32 s1, vcc_lo
	s_cbranch_execz .LBB0_17
; %bb.16:
	v_add_f64 v[2:3], v[88:89], v[96:97]
	v_add_f64 v[0:1], v[90:91], v[98:99]
	s_mov_b32 s55, 0xbfeca52d
	s_mov_b32 s54, s40
	v_mul_f64 v[96:97], v[219:220], s[2:3]
	s_mov_b32 s53, 0x3fd71e95
	s_mov_b32 s52, s30
	v_mul_f64 v[98:99], v[209:210], s[8:9]
	buffer_store_dword v218, off, s[60:63], 0 offset:204 ; 4-byte Folded Spill
	v_mov_b32_e32 v140, v221
	v_mov_b32_e32 v66, v247
	;; [unrolled: 1-line block ×13, first 2 shown]
	v_add_f64 v[2:3], v[2:3], v[108:109]
	v_add_f64 v[0:1], v[0:1], v[110:111]
	v_mul_f64 v[108:109], v[219:220], s[30:31]
	v_mul_f64 v[110:111], v[219:220], s[54:55]
	v_add_f64 v[96:97], v[231:232], -v[96:97]
	v_mov_b32_e32 v63, v29
	v_mov_b32_e32 v62, v28
	v_add_f64 v[98:99], v[98:99], v[223:224]
	v_mov_b32_e32 v28, v200
	v_mov_b32_e32 v29, v201
	v_mov_b32_e32 v198, v239
	v_mov_b32_e32 v199, v240
	v_mov_b32_e32 v200, v241
	v_mov_b32_e32 v201, v242
	v_mul_f64 v[30:31], v[195:196], s[46:47]
	s_mov_b32 s57, 0x3fe0d888
	s_mov_b32 s56, s22
	v_add_f64 v[2:3], v[2:3], v[120:121]
	v_add_f64 v[0:1], v[0:1], v[122:123]
	v_fma_f64 v[120:121], v[213:214], s[10:11], -v[108:109]
	v_fma_f64 v[108:109], v[213:214], s[10:11], v[108:109]
	v_fma_f64 v[122:123], v[213:214], s[38:39], v[110:111]
	v_fma_f64 v[110:111], v[213:214], s[38:39], -v[110:111]
	v_add_f64 v[96:97], v[90:91], v[96:97]
	v_add_f64 v[98:99], v[88:89], v[98:99]
	;; [unrolled: 1-line block ×9, first 2 shown]
	v_mul_f64 v[124:125], v[211:212], s[36:37]
	v_mul_f64 v[126:127], v[211:212], s[48:49]
	v_add_f64 v[2:3], v[2:3], v[128:129]
	v_add_f64 v[0:1], v[0:1], v[130:131]
	v_mul_f64 v[128:129], v[211:212], s[34:35]
	v_mul_f64 v[130:131], v[211:212], s[42:43]
	v_add_f64 v[2:3], v[2:3], v[112:113]
	v_add_f64 v[0:1], v[0:1], v[114:115]
	v_fma_f64 v[223:224], v[209:210], s[24:25], v[130:131]
	v_fma_f64 v[130:131], v[209:210], s[24:25], -v[130:131]
	v_add_f64 v[2:3], v[2:3], v[104:105]
	v_add_f64 v[0:1], v[0:1], v[106:107]
	v_mul_f64 v[104:105], v[219:220], s[34:35]
	v_mul_f64 v[106:107], v[219:220], s[42:43]
	v_add_f64 v[130:131], v[88:89], v[130:131]
	v_add_f64 v[2:3], v[2:3], v[100:101]
	;; [unrolled: 1-line block ×3, first 2 shown]
	v_mul_f64 v[100:101], v[219:220], s[36:37]
	v_mul_f64 v[102:103], v[219:220], s[48:49]
	v_fma_f64 v[116:117], v[213:214], s[26:27], v[104:105]
	v_fma_f64 v[104:105], v[213:214], s[26:27], -v[104:105]
	v_fma_f64 v[118:119], v[213:214], s[24:25], -v[106:107]
	v_fma_f64 v[106:107], v[213:214], s[24:25], v[106:107]
	v_add_f64 v[2:3], v[2:3], v[92:93]
	v_mul_f64 v[92:93], v[219:220], s[22:23]
	v_add_f64 v[0:1], v[0:1], v[94:95]
	v_mul_f64 v[94:95], v[209:210], s[18:19]
	v_fma_f64 v[112:113], v[213:214], s[28:29], v[100:101]
	v_fma_f64 v[100:101], v[213:214], s[28:29], -v[100:101]
	v_fma_f64 v[114:115], v[213:214], s[20:21], v[102:103]
	v_fma_f64 v[102:103], v[213:214], s[20:21], -v[102:103]
	v_add_f64 v[116:117], v[90:91], v[116:117]
	v_add_f64 v[104:105], v[90:91], v[104:105]
	;; [unrolled: 1-line block ×4, first 2 shown]
	v_fma_f64 v[213:214], v[209:210], s[28:29], -v[124:125]
	v_fma_f64 v[124:125], v[209:210], s[28:29], v[124:125]
	v_fma_f64 v[218:219], v[209:210], s[26:27], -v[128:129]
	v_fma_f64 v[128:129], v[209:210], s[26:27], v[128:129]
	v_add_f64 v[2:3], v[2:3], v[84:85]
	v_add_f64 v[92:93], v[215:216], -v[92:93]
	v_fma_f64 v[215:216], v[209:210], s[20:21], -v[126:127]
	v_add_f64 v[94:95], v[94:95], v[207:208]
	v_mul_f64 v[207:208], v[211:212], s[30:31]
	v_add_f64 v[112:113], v[90:91], v[112:113]
	v_add_f64 v[100:101], v[90:91], v[100:101]
	;; [unrolled: 1-line block ×4, first 2 shown]
	v_mul_f64 v[211:212], v[211:212], s[54:55]
	v_fma_f64 v[126:127], v[209:210], s[20:21], v[126:127]
	v_add_f64 v[0:1], v[0:1], v[86:87]
	v_add_f64 v[124:125], v[88:89], v[124:125]
	;; [unrolled: 1-line block ×6, first 2 shown]
	v_mul_f64 v[110:111], v[153:154], s[52:53]
	v_fma_f64 v[231:232], v[209:210], s[10:11], v[207:208]
	v_fma_f64 v[207:208], v[209:210], s[10:11], -v[207:208]
	v_add_f64 v[94:95], v[88:89], v[94:95]
	v_fma_f64 v[220:221], v[209:210], s[38:39], -v[211:212]
	v_fma_f64 v[209:210], v[209:210], s[38:39], v[211:212]
	v_add_f64 v[211:212], v[88:89], v[213:214]
	v_add_f64 v[213:214], v[88:89], v[215:216]
	;; [unrolled: 1-line block ×4, first 2 shown]
	v_mov_b32_e32 v218, v234
	v_mov_b32_e32 v219, v235
	v_add_f64 v[0:1], v[0:1], v[18:19]
	v_add_f64 v[2:3], v[2:3], v[12:13]
	v_mul_f64 v[12:13], v[187:188], s[36:37]
	v_fma_f64 v[84:85], v[145:146], s[10:11], v[110:111]
	v_add_f64 v[60:61], v[88:89], v[231:232]
	v_add_f64 v[207:208], v[88:89], v[207:208]
	v_fma_f64 v[16:17], v[145:146], s[10:11], -v[110:111]
	buffer_store_dword v60, off, s[60:63], 0 offset:220 ; 4-byte Folded Spill
	buffer_store_dword v61, off, s[60:63], 0 offset:224 ; 4-byte Folded Spill
	v_add_f64 v[84:85], v[84:85], v[112:113]
	v_mul_f64 v[112:113], v[143:144], s[52:53]
	v_add_f64 v[60:61], v[88:89], v[223:224]
	v_add_f64 v[220:221], v[88:89], v[220:221]
	;; [unrolled: 1-line block ×3, first 2 shown]
	v_mul_f64 v[209:210], v[161:162], s[22:23]
	v_mov_b32_e32 v223, v229
	v_add_f64 v[16:17], v[16:17], v[100:101]
	v_add_f64 v[0:1], v[0:1], v[14:15]
	v_mul_f64 v[14:15], v[181:182], s[30:31]
	v_add_f64 v[12:13], v[58:59], -v[12:13]
	buffer_store_dword v60, off, s[60:63], 0 offset:212 ; 4-byte Folded Spill
	buffer_store_dword v61, off, s[60:63], 0 offset:216 ; 4-byte Folded Spill
	v_fma_f64 v[86:87], v[141:142], s[10:11], -v[112:113]
	buffer_store_dword v197, off, s[60:63], 0 offset:196 ; 4-byte Folded Spill
	v_mov_b32_e32 v197, v233
	v_fma_f64 v[18:19], v[141:142], s[10:11], v[112:113]
	v_fma_f64 v[100:101], v[151:152], s[18:19], -v[209:210]
	v_mov_b32_e32 v61, v9
	v_mov_b32_e32 v60, v8
	v_mul_f64 v[8:9], v[191:192], s[46:47]
	v_mul_f64 v[112:113], v[153:154], s[40:41]
	v_add_f64 v[14:15], v[52:53], -v[14:15]
	v_add_f64 v[86:87], v[86:87], v[211:212]
	v_fma_f64 v[211:212], v[151:152], s[18:19], v[209:210]
	v_add_f64 v[18:19], v[18:19], v[124:125]
	v_add_f64 v[16:17], v[100:101], v[16:17]
	v_mul_f64 v[124:125], v[167:168], s[28:29]
	v_fma_f64 v[110:111], v[175:176], s[26:27], v[8:9]
	v_add_f64 v[112:113], v[40:41], -v[112:113]
	v_add_f64 v[84:85], v[211:212], v[84:85]
	v_mul_f64 v[211:212], v[147:148], s[22:23]
	v_add_f64 v[124:125], v[124:125], v[54:55]
	v_add_f64 v[92:93], v[112:113], v[92:93]
	v_mul_f64 v[112:113], v[155:156], s[8:9]
	v_fma_f64 v[231:232], v[149:150], s[18:19], -v[211:212]
	v_fma_f64 v[100:101], v[149:150], s[18:19], v[211:212]
	v_add_f64 v[112:113], v[112:113], v[38:39]
	v_add_f64 v[86:87], v[231:232], v[86:87]
	v_mul_f64 v[231:232], v[163:164], s[44:45]
	v_add_f64 v[18:19], v[100:101], v[18:19]
	v_fma_f64 v[224:225], v[159:160], s[24:25], v[231:232]
	v_fma_f64 v[100:101], v[159:160], s[24:25], -v[231:232]
	v_add_f64 v[84:85], v[224:225], v[84:85]
	v_mul_f64 v[224:225], v[157:158], s[44:45]
	v_add_f64 v[16:17], v[100:101], v[16:17]
	v_fma_f64 v[226:227], v[155:156], s[24:25], -v[224:225]
	v_fma_f64 v[100:101], v[155:156], s[24:25], v[224:225]
	v_add_f64 v[86:87], v[226:227], v[86:87]
	v_mul_f64 v[226:227], v[181:182], s[2:3]
	v_add_f64 v[18:19], v[100:101], v[18:19]
	v_fma_f64 v[228:229], v[169:170], s[8:9], v[226:227]
	v_fma_f64 v[100:101], v[169:170], s[8:9], -v[226:227]
	v_add_f64 v[84:85], v[228:229], v[84:85]
	v_mul_f64 v[228:229], v[171:172], s[2:3]
	v_add_f64 v[16:17], v[100:101], v[16:17]
	v_fma_f64 v[233:234], v[165:166], s[8:9], -v[228:229]
	v_fma_f64 v[100:101], v[165:166], s[8:9], v[228:229]
	v_mov_b32_e32 v229, v223
	v_add_f64 v[86:87], v[233:234], v[86:87]
	v_mul_f64 v[233:234], v[187:188], s[40:41]
	v_add_f64 v[18:19], v[100:101], v[18:19]
	v_fma_f64 v[235:236], v[177:178], s[38:39], v[233:234]
	v_fma_f64 v[100:101], v[177:178], s[38:39], -v[233:234]
	v_mov_b32_e32 v233, v197
	v_add_f64 v[84:85], v[235:236], v[84:85]
	v_mul_f64 v[235:236], v[183:184], s[40:41]
	v_add_f64 v[16:17], v[100:101], v[16:17]
	v_fma_f64 v[237:238], v[167:168], s[38:39], -v[235:236]
	v_fma_f64 v[100:101], v[167:168], s[38:39], v[235:236]
	v_add_f64 v[86:87], v[237:238], v[86:87]
	v_mul_f64 v[237:238], v[193:194], s[48:49]
	v_add_f64 v[18:19], v[100:101], v[18:19]
	v_fma_f64 v[239:240], v[185:186], s[20:21], v[237:238]
	v_fma_f64 v[100:101], v[185:186], s[20:21], -v[237:238]
	v_add_f64 v[84:85], v[239:240], v[84:85]
	v_mul_f64 v[239:240], v[189:190], s[48:49]
	v_add_f64 v[16:17], v[100:101], v[16:17]
	v_fma_f64 v[241:242], v[173:174], s[20:21], -v[239:240]
	v_fma_f64 v[100:101], v[173:174], s[20:21], v[239:240]
	v_add_f64 v[241:242], v[241:242], v[86:87]
	v_fma_f64 v[86:87], v[179:180], s[26:27], v[30:31]
	v_add_f64 v[100:101], v[100:101], v[18:19]
	v_fma_f64 v[18:19], v[179:180], s[26:27], -v[30:31]
	v_add_f64 v[86:87], v[86:87], v[84:85]
	v_fma_f64 v[84:85], v[175:176], s[26:27], -v[8:9]
	v_add_f64 v[18:19], v[18:19], v[16:17]
	v_add_f64 v[16:17], v[110:111], v[100:101]
	v_mul_f64 v[110:111], v[161:162], s[34:35]
	v_mul_f64 v[100:101], v[163:164], s[50:51]
	v_mul_f64 v[8:9], v[181:182], s[46:47]
	v_add_f64 v[84:85], v[84:85], v[241:242]
	v_mov_b32_e32 v242, v201
	v_mov_b32_e32 v241, v200
	v_mov_b32_e32 v240, v199
	v_mov_b32_e32 v239, v198
	v_mul_f64 v[199:200], v[141:142], s[38:39]
	v_mul_f64 v[201:202], v[149:150], s[26:27]
	v_add_f64 v[110:111], v[42:43], -v[110:111]
	v_add_f64 v[100:101], v[50:51], -v[100:101]
	v_mul_f64 v[197:198], v[165:166], s[10:11]
	v_add_f64 v[8:9], v[10:11], -v[8:9]
	v_mul_f64 v[10:11], v[163:164], s[22:23]
	v_add_f64 v[199:200], v[199:200], v[32:33]
	v_add_f64 v[201:202], v[201:202], v[36:37]
	;; [unrolled: 1-line block ×3, first 2 shown]
	v_mul_f64 v[110:111], v[193:194], s[44:45]
	v_add_f64 v[197:198], v[197:198], v[44:45]
	v_add_f64 v[10:11], v[24:25], -v[10:11]
	v_add_f64 v[94:95], v[199:200], v[94:95]
	v_add_f64 v[92:93], v[100:101], v[92:93]
	v_mul_f64 v[100:101], v[173:174], s[24:25]
	v_add_f64 v[110:111], v[48:49], -v[110:111]
	v_add_f64 v[94:95], v[201:202], v[94:95]
	v_add_f64 v[14:15], v[14:15], v[92:93]
	;; [unrolled: 1-line block ×4, first 2 shown]
	v_mul_f64 v[112:113], v[149:150], s[10:11]
	v_add_f64 v[12:13], v[12:13], v[14:15]
	v_add_f64 v[92:93], v[197:198], v[94:95]
	v_mul_f64 v[94:95], v[195:196], s[48:49]
	v_add_f64 v[12:13], v[110:111], v[12:13]
	v_add_f64 v[112:113], v[112:113], v[203:204]
	v_mul_f64 v[110:111], v[155:156], s[18:19]
	v_mul_f64 v[197:198], v[187:188], s[42:43]
	v_add_f64 v[14:15], v[124:125], v[92:93]
	v_mul_f64 v[92:93], v[175:176], s[20:21]
	v_add_f64 v[94:95], v[74:75], -v[94:95]
	v_mul_f64 v[124:125], v[141:142], s[20:21]
	v_add_f64 v[110:111], v[110:111], v[6:7]
	v_add_f64 v[197:198], v[70:71], -v[197:198]
	v_add_f64 v[100:101], v[100:101], v[14:15]
	v_add_f64 v[92:93], v[92:93], v[56:57]
	;; [unrolled: 1-line block ×5, first 2 shown]
	s_clause 0x3
	buffer_load_dword v92, off, s[60:63], 0 offset:16
	buffer_load_dword v93, off, s[60:63], 0 offset:20
	;; [unrolled: 1-line block ×4, first 2 shown]
	v_mul_f64 v[100:101], v[165:166], s[26:27]
	v_add_f64 v[100:101], v[100:101], v[26:27]
	s_waitcnt vmcnt(2)
	v_add_f64 v[2:3], v[2:3], v[92:93]
	v_mul_f64 v[92:93], v[161:162], s[30:31]
	s_waitcnt vmcnt(0)
	v_add_f64 v[0:1], v[0:1], v[94:95]
	v_mul_f64 v[94:95], v[153:154], s[16:17]
	v_add_f64 v[92:93], v[4:5], -v[92:93]
	s_clause 0x1
	buffer_load_dword v4, off, s[60:63], 0 offset:36
	buffer_load_dword v5, off, s[60:63], 0 offset:40
	v_add_f64 v[94:95], v[205:206], -v[94:95]
	v_add_f64 v[94:95], v[94:95], v[96:97]
	v_add_f64 v[96:97], v[124:125], v[98:99]
	v_mul_f64 v[98:99], v[193:194], s[36:37]
	v_add_f64 v[92:93], v[92:93], v[94:95]
	v_add_f64 v[94:95], v[112:113], v[96:97]
	v_mul_f64 v[96:97], v[167:168], s[24:25]
	v_add_f64 v[98:99], v[28:29], -v[98:99]
	v_mov_b32_e32 v28, v62
	v_mov_b32_e32 v29, v63
	;; [unrolled: 1-line block ×4, first 2 shown]
	v_add_f64 v[10:11], v[10:11], v[92:93]
	v_add_f64 v[92:93], v[110:111], v[94:95]
	v_mul_f64 v[94:95], v[173:174], s[28:29]
	v_add_f64 v[8:9], v[8:9], v[10:11]
	v_add_f64 v[10:11], v[100:101], v[92:93]
	v_add_f64 v[94:95], v[94:95], v[72:73]
	v_mul_f64 v[92:93], v[195:196], s[40:41]
	v_add_f64 v[8:9], v[197:198], v[8:9]
	v_add_f64 v[92:93], v[34:35], -v[92:93]
	v_add_f64 v[8:9], v[98:99], v[8:9]
	s_waitcnt vmcnt(0)
	v_add_f64 v[96:97], v[96:97], v[4:5]
	s_clause 0x5
	buffer_load_dword v4, off, s[60:63], 0
	buffer_load_dword v5, off, s[60:63], 0 offset:4
	buffer_load_dword v6, off, s[60:63], 0 offset:8
	;; [unrolled: 1-line block ×5, first 2 shown]
	v_add_f64 v[10:11], v[96:97], v[10:11]
	v_mul_f64 v[96:97], v[175:176], s[38:39]
	v_add_f64 v[94:95], v[94:95], v[10:11]
	v_add_f64 v[96:97], v[96:97], v[60:61]
	;; [unrolled: 1-line block ×3, first 2 shown]
	v_mul_f64 v[92:93], v[143:144], s[56:57]
	v_add_f64 v[8:9], v[96:97], v[94:95]
	v_mul_f64 v[96:97], v[161:162], s[44:45]
	v_fma_f64 v[94:95], v[141:142], s[18:19], -v[92:93]
	v_fma_f64 v[92:93], v[141:142], s[18:19], v[92:93]
	v_fma_f64 v[98:99], v[151:152], s[24:25], -v[96:97]
	v_fma_f64 v[96:97], v[151:152], s[24:25], v[96:97]
	v_add_f64 v[92:93], v[92:93], v[126:127]
	v_add_f64 v[94:95], v[94:95], v[213:214]
	s_waitcnt vmcnt(4)
	v_add_f64 v[2:3], v[2:3], v[4:5]
	v_mul_f64 v[4:5], v[153:154], s[56:57]
	s_waitcnt vmcnt(2)
	v_add_f64 v[0:1], v[0:1], v[6:7]
	v_fma_f64 v[6:7], v[145:146], s[18:19], v[4:5]
	v_fma_f64 v[4:5], v[145:146], s[18:19], -v[4:5]
	v_add_f64 v[6:7], v[6:7], v[114:115]
	v_add_f64 v[4:5], v[4:5], v[102:103]
	v_add_f64 v[6:7], v[96:97], v[6:7]
	v_mul_f64 v[96:97], v[147:148], s[44:45]
	v_add_f64 v[4:5], v[98:99], v[4:5]
	v_fma_f64 v[98:99], v[149:150], s[24:25], -v[96:97]
	v_fma_f64 v[96:97], v[149:150], s[24:25], v[96:97]
	v_add_f64 v[94:95], v[98:99], v[94:95]
	v_add_f64 v[92:93], v[96:97], v[92:93]
	v_mul_f64 v[96:97], v[163:164], s[54:55]
	v_fma_f64 v[98:99], v[159:160], s[38:39], -v[96:97]
	v_fma_f64 v[96:97], v[159:160], s[38:39], v[96:97]
	v_add_f64 v[4:5], v[98:99], v[4:5]
	v_add_f64 v[6:7], v[96:97], v[6:7]
	v_mul_f64 v[96:97], v[157:158], s[54:55]
	v_fma_f64 v[98:99], v[155:156], s[38:39], -v[96:97]
	v_fma_f64 v[96:97], v[155:156], s[38:39], v[96:97]
	v_add_f64 v[94:95], v[98:99], v[94:95]
	v_mul_f64 v[98:99], v[181:182], s[36:37]
	v_add_f64 v[92:93], v[96:97], v[92:93]
	v_fma_f64 v[100:101], v[169:170], s[28:29], -v[98:99]
	v_fma_f64 v[98:99], v[169:170], s[28:29], v[98:99]
	v_add_f64 v[4:5], v[100:101], v[4:5]
	v_add_f64 v[6:7], v[98:99], v[6:7]
	v_mul_f64 v[98:99], v[171:172], s[36:37]
	v_fma_f64 v[100:101], v[165:166], s[28:29], -v[98:99]
	v_fma_f64 v[98:99], v[165:166], s[28:29], v[98:99]
	v_add_f64 v[94:95], v[100:101], v[94:95]
	v_mul_f64 v[100:101], v[187:188], s[46:47]
	v_add_f64 v[92:93], v[98:99], v[92:93]
	v_fma_f64 v[102:103], v[177:178], s[26:27], -v[100:101]
	v_fma_f64 v[100:101], v[177:178], s[26:27], v[100:101]
	v_add_f64 v[4:5], v[102:103], v[4:5]
	v_add_f64 v[6:7], v[100:101], v[6:7]
	v_mul_f64 v[100:101], v[183:184], s[46:47]
	s_mov_b32 s47, 0x3fc7851a
	s_mov_b32 s46, s36
	v_fma_f64 v[102:103], v[167:168], s[26:27], -v[100:101]
	v_fma_f64 v[100:101], v[167:168], s[26:27], v[100:101]
	v_add_f64 v[94:95], v[102:103], v[94:95]
	v_mul_f64 v[102:103], v[193:194], s[30:31]
	v_add_f64 v[92:93], v[100:101], v[92:93]
	v_mul_f64 v[100:101], v[143:144], s[2:3]
	v_fma_f64 v[110:111], v[185:186], s[10:11], -v[102:103]
	v_fma_f64 v[102:103], v[185:186], s[10:11], v[102:103]
	v_add_f64 v[4:5], v[110:111], v[4:5]
	v_mul_f64 v[110:111], v[153:154], s[36:37]
	v_add_f64 v[6:7], v[102:103], v[6:7]
	v_mul_f64 v[102:103], v[189:190], s[30:31]
	v_fma_f64 v[96:97], v[145:146], s[28:29], -v[110:111]
	v_fma_f64 v[112:113], v[145:146], s[28:29], v[110:111]
	v_fma_f64 v[114:115], v[173:174], s[10:11], -v[102:103]
	v_add_f64 v[96:97], v[96:97], v[104:105]
	v_mul_f64 v[104:105], v[161:162], s[16:17]
	v_add_f64 v[112:113], v[112:113], v[116:117]
	v_add_f64 v[114:115], v[114:115], v[94:95]
	v_mul_f64 v[94:95], v[143:144], s[36:37]
	v_fma_f64 v[98:99], v[151:152], s[20:21], -v[104:105]
	v_fma_f64 v[110:111], v[151:152], s[20:21], v[104:105]
	v_fma_f64 v[116:117], v[141:142], s[28:29], -v[94:95]
	v_fma_f64 v[94:95], v[141:142], s[28:29], v[94:95]
	v_add_f64 v[96:97], v[98:99], v[96:97]
	v_mul_f64 v[98:99], v[163:164], s[52:53]
	v_add_f64 v[110:111], v[110:111], v[112:113]
	v_mul_f64 v[112:113], v[147:148], s[16:17]
	v_add_f64 v[116:117], v[116:117], v[215:216]
	v_add_f64 v[94:95], v[94:95], v[128:129]
	v_fma_f64 v[104:105], v[159:160], s[10:11], v[98:99]
	v_fma_f64 v[98:99], v[159:160], s[10:11], -v[98:99]
	v_fma_f64 v[124:125], v[149:150], s[20:21], -v[112:113]
	v_add_f64 v[104:105], v[104:105], v[110:111]
	v_mul_f64 v[110:111], v[153:154], s[2:3]
	v_add_f64 v[116:117], v[124:125], v[116:117]
	v_add_f64 v[96:97], v[98:99], v[96:97]
	v_mul_f64 v[98:99], v[181:182], s[54:55]
	v_fma_f64 v[124:125], v[145:146], s[8:9], v[110:111]
	v_fma_f64 v[110:111], v[145:146], s[8:9], -v[110:111]
	v_fma_f64 v[128:129], v[169:170], s[38:39], v[98:99]
	v_fma_f64 v[98:99], v[169:170], s[38:39], -v[98:99]
	v_add_f64 v[122:123], v[124:125], v[122:123]
	v_add_f64 v[90:91], v[110:111], v[90:91]
	v_fma_f64 v[110:111], v[149:150], s[20:21], v[112:113]
	v_mul_f64 v[124:125], v[157:158], s[52:53]
	v_add_f64 v[104:105], v[128:129], v[104:105]
	v_add_f64 v[96:97], v[98:99], v[96:97]
	v_mul_f64 v[98:99], v[187:188], s[22:23]
	v_add_f64 v[94:95], v[110:111], v[94:95]
	v_mul_f64 v[110:111], v[161:162], s[46:47]
	v_fma_f64 v[126:127], v[155:156], s[10:11], -v[124:125]
	v_fma_f64 v[112:113], v[151:152], s[28:29], v[110:111]
	v_fma_f64 v[110:111], v[151:152], s[28:29], -v[110:111]
	v_add_f64 v[116:117], v[126:127], v[116:117]
	v_fma_f64 v[126:127], v[141:142], s[8:9], -v[100:101]
	v_fma_f64 v[100:101], v[141:142], s[8:9], v[100:101]
	v_add_f64 v[112:113], v[112:113], v[122:123]
	v_mul_f64 v[122:123], v[171:172], s[54:55]
	v_add_f64 v[90:91], v[110:111], v[90:91]
	v_fma_f64 v[110:111], v[155:156], s[10:11], v[124:125]
	v_add_f64 v[126:127], v[126:127], v[220:221]
	v_add_f64 v[88:89], v[100:101], v[88:89]
	v_mul_f64 v[100:101], v[157:158], s[16:17]
	v_mov_b32_e32 v221, v140
	v_fma_f64 v[128:129], v[165:166], s[38:39], -v[122:123]
	v_add_f64 v[94:95], v[110:111], v[94:95]
	v_mul_f64 v[110:111], v[163:164], s[16:17]
	v_add_f64 v[116:117], v[128:129], v[116:117]
	v_mul_f64 v[128:129], v[147:148], s[46:47]
	v_fma_f64 v[124:125], v[159:160], s[20:21], v[110:111]
	v_fma_f64 v[197:198], v[149:150], s[28:29], -v[128:129]
	v_add_f64 v[112:113], v[124:125], v[112:113]
	v_mul_f64 v[124:125], v[183:184], s[22:23]
	v_add_f64 v[126:127], v[197:198], v[126:127]
	v_fma_f64 v[197:198], v[177:178], s[18:19], v[98:99]
	v_fma_f64 v[98:99], v[177:178], s[18:19], -v[98:99]
	v_add_f64 v[104:105], v[197:198], v[104:105]
	v_fma_f64 v[197:198], v[167:168], s[18:19], -v[124:125]
	v_add_f64 v[96:97], v[98:99], v[96:97]
	v_fma_f64 v[98:99], v[173:174], s[10:11], v[102:103]
	v_add_f64 v[116:117], v[197:198], v[116:117]
	v_fma_f64 v[197:198], v[155:156], s[20:21], -v[100:101]
	v_fma_f64 v[100:101], v[155:156], s[20:21], v[100:101]
	v_add_f64 v[126:127], v[197:198], v[126:127]
	v_add_f64 v[197:198], v[98:99], v[92:93]
	v_mul_f64 v[92:93], v[193:194], s[50:51]
	v_fma_f64 v[98:99], v[185:186], s[8:9], v[92:93]
	v_fma_f64 v[92:93], v[185:186], s[8:9], -v[92:93]
	v_add_f64 v[199:200], v[98:99], v[104:105]
	v_fma_f64 v[98:99], v[159:160], s[20:21], -v[110:111]
	v_mul_f64 v[104:105], v[189:190], s[50:51]
	v_add_f64 v[92:93], v[92:93], v[96:97]
	v_add_f64 v[90:91], v[98:99], v[90:91]
	v_fma_f64 v[98:99], v[165:166], s[38:39], v[122:123]
	v_fma_f64 v[110:111], v[173:174], s[8:9], -v[104:105]
	v_mul_f64 v[122:123], v[143:144], s[34:35]
	v_fma_f64 v[104:105], v[173:174], s[8:9], v[104:105]
	v_add_f64 v[94:95], v[98:99], v[94:95]
	v_mul_f64 v[98:99], v[181:182], s[44:45]
	v_fma_f64 v[96:97], v[169:170], s[24:25], -v[98:99]
	v_fma_f64 v[102:103], v[169:170], s[24:25], v[98:99]
	v_add_f64 v[90:91], v[96:97], v[90:91]
	v_fma_f64 v[96:97], v[167:168], s[18:19], v[124:125]
	v_add_f64 v[102:103], v[102:103], v[112:113]
	v_add_f64 v[112:113], v[110:111], v[116:117]
	v_fma_f64 v[110:111], v[149:150], s[28:29], v[128:129]
	v_mul_f64 v[124:125], v[143:144], s[42:43]
	v_add_f64 v[94:95], v[96:97], v[94:95]
	v_mul_f64 v[96:97], v[187:188], s[30:31]
	v_add_f64 v[88:89], v[110:111], v[88:89]
	v_mul_f64 v[110:111], v[171:172], s[44:45]
	v_fma_f64 v[128:129], v[141:142], s[24:25], v[124:125]
	v_fma_f64 v[124:125], v[141:142], s[24:25], -v[124:125]
	v_fma_f64 v[98:99], v[177:178], s[10:11], v[96:97]
	v_fma_f64 v[96:97], v[177:178], s[10:11], -v[96:97]
	v_add_f64 v[88:89], v[100:101], v[88:89]
	v_fma_f64 v[116:117], v[165:166], s[24:25], -v[110:111]
	v_mul_f64 v[100:101], v[183:184], s[30:31]
	v_add_f64 v[124:125], v[124:125], v[207:208]
	v_add_f64 v[98:99], v[98:99], v[102:103]
	v_add_f64 v[90:91], v[96:97], v[90:91]
	v_fma_f64 v[96:97], v[165:166], s[24:25], v[110:111]
	v_add_f64 v[116:117], v[116:117], v[126:127]
	v_fma_f64 v[102:103], v[167:168], s[10:11], -v[100:101]
	v_fma_f64 v[126:127], v[141:142], s[26:27], v[122:123]
	v_fma_f64 v[122:123], v[141:142], s[26:27], -v[122:123]
	v_mul_f64 v[141:142], v[147:148], s[54:55]
	v_fma_f64 v[100:101], v[167:168], s[10:11], v[100:101]
	v_add_f64 v[88:89], v[96:97], v[88:89]
	v_mul_f64 v[96:97], v[153:154], s[34:35]
	v_add_f64 v[102:103], v[102:103], v[116:117]
	v_mul_f64 v[116:117], v[153:154], s[42:43]
	v_add_f64 v[88:89], v[100:101], v[88:89]
	v_fma_f64 v[110:111], v[145:146], s[26:27], -v[96:97]
	v_fma_f64 v[96:97], v[145:146], s[26:27], v[96:97]
	v_add_f64 v[110:111], v[110:111], v[118:119]
	v_fma_f64 v[118:119], v[145:146], s[24:25], -v[116:117]
	v_fma_f64 v[116:117], v[145:146], s[24:25], v[116:117]
	v_add_f64 v[96:97], v[96:97], v[106:107]
	v_add_f64 v[106:107], v[122:123], v[130:131]
	v_mul_f64 v[122:123], v[161:162], s[2:3]
	v_fma_f64 v[145:146], v[149:150], s[38:39], v[141:142]
	v_fma_f64 v[141:142], v[149:150], s[38:39], -v[141:142]
	v_add_f64 v[118:119], v[118:119], v[120:121]
	s_waitcnt vmcnt(0)
	v_add_f64 v[120:121], v[128:129], v[24:25]
	s_clause 0x2
	buffer_load_dword v218, off, s[60:63], 0 offset:204
	buffer_load_dword v24, off, s[60:63], 0 offset:212
	buffer_load_dword v25, off, s[60:63], 0 offset:216
	v_add_f64 v[108:109], v[116:117], v[108:109]
	v_mul_f64 v[116:117], v[147:148], s[2:3]
	v_fma_f64 v[128:129], v[151:152], s[8:9], -v[122:123]
	v_fma_f64 v[122:123], v[151:152], s[8:9], v[122:123]
	v_add_f64 v[124:125], v[141:142], v[124:125]
	v_mul_f64 v[141:142], v[181:182], s[48:49]
	v_add_f64 v[120:121], v[145:146], v[120:121]
	v_fma_f64 v[143:144], v[149:150], s[8:9], v[116:117]
	v_fma_f64 v[116:117], v[149:150], s[8:9], -v[116:117]
	v_add_f64 v[110:111], v[128:129], v[110:111]
	v_mul_f64 v[128:129], v[161:162], s[54:55]
	v_add_f64 v[96:97], v[122:123], v[96:97]
	v_mul_f64 v[149:150], v[171:172], s[56:57]
	;; [unrolled: 2-line block ×3, first 2 shown]
	v_fma_f64 v[130:131], v[151:152], s[38:39], -v[128:129]
	v_fma_f64 v[128:129], v[151:152], s[38:39], v[128:129]
	v_mul_f64 v[151:152], v[187:188], s[2:3]
	v_fma_f64 v[122:123], v[159:160], s[28:29], -v[116:117]
	v_add_f64 v[118:119], v[130:131], v[118:119]
	v_add_f64 v[108:109], v[128:129], v[108:109]
	v_mul_f64 v[128:129], v[157:158], s[36:37]
	v_fma_f64 v[116:117], v[159:160], s[28:29], v[116:117]
	v_add_f64 v[110:111], v[122:123], v[110:111]
	v_mul_f64 v[122:123], v[163:164], s[34:35]
	v_mul_f64 v[163:164], v[189:190], s[34:35]
	v_fma_f64 v[145:146], v[155:156], s[28:29], v[128:129]
	v_fma_f64 v[128:129], v[155:156], s[28:29], -v[128:129]
	v_add_f64 v[96:97], v[116:117], v[96:97]
	v_mul_f64 v[116:117], v[187:188], s[16:17]
	v_fma_f64 v[130:131], v[159:160], s[26:27], -v[122:123]
	v_fma_f64 v[122:123], v[159:160], s[26:27], v[122:123]
	v_mul_f64 v[159:160], v[189:190], s[40:41]
	v_add_f64 v[106:107], v[128:129], v[106:107]
	v_fma_f64 v[128:129], v[169:170], s[20:21], -v[141:142]
	v_fma_f64 v[141:142], v[169:170], s[20:21], v[141:142]
	v_fma_f64 v[153:154], v[177:178], s[20:21], -v[116:117]
	v_fma_f64 v[116:117], v[177:178], s[20:21], v[116:117]
	v_add_f64 v[118:119], v[130:131], v[118:119]
	v_mul_f64 v[130:131], v[181:182], s[56:57]
	v_add_f64 v[108:109], v[122:123], v[108:109]
	v_add_f64 v[118:119], v[128:129], v[118:119]
	v_mul_f64 v[128:129], v[193:194], s[40:41]
	v_add_f64 v[108:109], v[141:142], v[108:109]
	v_mul_f64 v[141:142], v[189:190], s[22:23]
	v_fma_f64 v[161:162], v[185:186], s[38:39], -v[128:129]
	v_fma_f64 v[128:129], v[185:186], s[38:39], v[128:129]
	s_waitcnt vmcnt(0)
	v_add_f64 v[126:127], v[126:127], v[24:25]
	v_add_f64 v[126:127], v[143:144], v[126:127]
	v_mul_f64 v[143:144], v[157:158], s[34:35]
	v_mul_f64 v[157:158], v[183:184], s[16:17]
	v_add_f64 v[126:127], v[145:146], v[126:127]
	v_fma_f64 v[147:148], v[155:156], s[26:27], v[143:144]
	v_fma_f64 v[143:144], v[155:156], s[26:27], -v[143:144]
	v_mul_f64 v[145:146], v[171:172], s[48:49]
	v_mul_f64 v[155:156], v[183:184], s[2:3]
	;; [unrolled: 1-line block ×3, first 2 shown]
	v_add_f64 v[120:121], v[147:148], v[120:121]
	v_fma_f64 v[147:148], v[169:170], s[18:19], -v[130:131]
	v_fma_f64 v[130:131], v[169:170], s[18:19], v[130:131]
	v_fma_f64 v[122:123], v[165:166], s[20:21], v[145:146]
	v_add_f64 v[124:125], v[143:144], v[124:125]
	v_mul_f64 v[143:144], v[193:194], s[34:35]
	v_fma_f64 v[145:146], v[165:166], s[20:21], -v[145:146]
	v_mul_f64 v[169:170], v[191:192], s[52:53]
	v_add_f64 v[110:111], v[147:148], v[110:111]
	v_fma_f64 v[147:148], v[165:166], s[18:19], v[149:150]
	v_fma_f64 v[149:150], v[165:166], s[18:19], -v[149:150]
	v_add_f64 v[120:121], v[122:123], v[120:121]
	v_add_f64 v[96:97], v[130:131], v[96:97]
	v_fma_f64 v[130:131], v[167:168], s[8:9], v[155:156]
	v_add_f64 v[124:125], v[145:146], v[124:125]
	v_fma_f64 v[145:146], v[173:174], s[38:39], v[159:160]
	v_fma_f64 v[155:156], v[167:168], s[8:9], -v[155:156]
	v_fma_f64 v[159:160], v[173:174], s[38:39], -v[159:160]
	v_mul_f64 v[165:166], v[191:192], s[44:45]
	v_add_f64 v[110:111], v[153:154], v[110:111]
	v_add_f64 v[122:123], v[147:148], v[126:127]
	v_add_f64 v[106:107], v[149:150], v[106:107]
	v_fma_f64 v[126:127], v[177:178], s[8:9], -v[151:152]
	v_fma_f64 v[147:148], v[167:168], s[20:21], v[157:158]
	v_mul_f64 v[149:150], v[193:194], s[22:23]
	v_fma_f64 v[153:154], v[185:186], s[26:27], -v[143:144]
	v_fma_f64 v[157:158], v[167:168], s[20:21], -v[157:158]
	v_add_f64 v[120:121], v[130:131], v[120:121]
	v_add_f64 v[96:97], v[116:117], v[96:97]
	v_fma_f64 v[116:117], v[173:174], s[18:19], v[141:142]
	v_add_f64 v[124:125], v[155:156], v[124:125]
	v_fma_f64 v[151:152], v[177:178], s[8:9], v[151:152]
	v_mul_f64 v[167:168], v[191:192], s[36:37]
	v_fma_f64 v[143:144], v[185:186], s[26:27], v[143:144]
	v_fma_f64 v[141:142], v[173:174], s[18:19], -v[141:142]
	v_fma_f64 v[177:178], v[175:176], s[24:25], v[165:166]
	v_fma_f64 v[165:166], v[175:176], s[24:25], -v[165:166]
	v_add_f64 v[110:111], v[161:162], v[110:111]
	v_mul_f64 v[161:162], v[195:196], s[36:37]
	v_add_f64 v[118:119], v[126:127], v[118:119]
	v_add_f64 v[122:123], v[147:148], v[122:123]
	v_fma_f64 v[100:101], v[185:186], s[18:19], -v[149:150]
	v_add_f64 v[130:131], v[153:154], v[90:91]
	v_mul_f64 v[90:91], v[191:192], s[2:3]
	v_fma_f64 v[147:148], v[173:174], s[26:27], v[163:164]
	v_add_f64 v[106:107], v[157:158], v[106:107]
	v_fma_f64 v[163:164], v[173:174], s[26:27], -v[163:164]
	v_add_f64 v[116:117], v[116:117], v[120:121]
	v_mul_f64 v[157:158], v[195:196], s[52:53]
	v_mul_f64 v[153:154], v[195:196], s[44:45]
	v_add_f64 v[108:109], v[151:152], v[108:109]
	v_mul_f64 v[151:152], v[195:196], s[22:23]
	v_mul_f64 v[126:127], v[195:196], s[2:3]
	v_fma_f64 v[149:150], v[185:186], s[18:19], v[149:150]
	v_add_f64 v[128:129], v[128:129], v[96:97]
	v_fma_f64 v[96:97], v[175:176], s[28:29], v[167:168]
	v_add_f64 v[143:144], v[143:144], v[98:99]
	v_fma_f64 v[173:174], v[175:176], s[18:19], v[171:172]
	v_fma_f64 v[171:172], v[175:176], s[18:19], -v[171:172]
	v_fma_f64 v[167:168], v[175:176], s[28:29], -v[167:168]
	v_add_f64 v[124:125], v[141:142], v[124:125]
	v_add_f64 v[112:113], v[165:166], v[112:113]
	;; [unrolled: 1-line block ×4, first 2 shown]
	v_fma_f64 v[145:146], v[175:176], s[8:9], v[90:91]
	v_add_f64 v[88:89], v[147:148], v[88:89]
	v_add_f64 v[147:148], v[104:105], v[94:95]
	v_fma_f64 v[104:105], v[179:180], s[28:29], -v[161:162]
	v_add_f64 v[155:156], v[163:164], v[102:103]
	v_add_f64 v[159:160], v[159:160], v[106:107]
	;; [unrolled: 1-line block ×3, first 2 shown]
	s_clause 0x1
	buffer_load_dword v0, off, s[60:63], 0 offset:60
	buffer_load_dword v1, off, s[60:63], 0 offset:32
	v_fma_f64 v[98:99], v[179:180], s[10:11], -v[157:158]
	v_fma_f64 v[163:164], v[175:176], s[10:11], v[169:170]
	v_fma_f64 v[122:123], v[175:176], s[8:9], -v[90:91]
	v_fma_f64 v[90:91], v[179:180], s[24:25], -v[153:154]
	;; [unrolled: 1-line block ×4, first 2 shown]
	v_fma_f64 v[126:127], v[179:180], s[8:9], v[126:127]
	v_fma_f64 v[153:154], v[179:180], s[24:25], v[153:154]
	;; [unrolled: 1-line block ×4, first 2 shown]
	v_fma_f64 v[169:170], v[175:176], s[10:11], -v[169:170]
	v_fma_f64 v[161:162], v[179:180], s[28:29], v[161:162]
	v_add_f64 v[149:150], v[149:150], v[108:109]
	v_add_f64 v[124:125], v[167:168], v[124:125]
	;; [unrolled: 1-line block ×5, first 2 shown]
	buffer_load_dword v197, off, s[60:63], 0 offset:196 ; 4-byte Folded Reload
	v_add_f64 v[100:101], v[96:97], v[116:117]
	v_add_f64 v[116:117], v[171:172], v[155:156]
	;; [unrolled: 1-line block ×15, first 2 shown]
	v_mov_b32_e32 v250, v69
	v_add_f64 v[126:127], v[161:162], v[149:150]
	v_mov_b32_e32 v249, v68
	v_mov_b32_e32 v248, v67
	;; [unrolled: 1-line block ×3, first 2 shown]
	s_waitcnt vmcnt(2)
	v_and_b32_e32 v0, 0xffff, v0
	s_waitcnt vmcnt(1)
	v_lshl_add_u32 v0, v0, 4, v1
	ds_write_b128 v0, v[104:107]
	ds_write_b128 v0, v[100:103] offset:16
	ds_write_b128 v0, v[96:99] offset:32
	;; [unrolled: 1-line block ×16, first 2 shown]
.LBB0_17:
	s_or_b32 exec_lo, exec_lo, s1
	s_waitcnt vmcnt(0) lgkmcnt(0)
	s_waitcnt_vscnt null, 0x0
	s_barrier
	buffer_gl0_inv
	ds_read_b128 v[4:7], v255
	ds_read_b128 v[8:11], v255 offset:544
	ds_read_b128 v[84:87], v255 offset:3536
	;; [unrolled: 1-line block ×9, first 2 shown]
	s_and_saveexec_b32 s1, s0
	s_cbranch_execz .LBB0_19
; %bb.18:
	ds_read_b128 v[136:139], v255 offset:2720
	ds_read_b128 v[132:135], v255 offset:5712
.LBB0_19:
	s_or_b32 exec_lo, exec_lo, s1
	s_clause 0x3
	buffer_load_dword v36, off, s[60:63], 0 offset:144
	buffer_load_dword v37, off, s[60:63], 0 offset:148
	;; [unrolled: 1-line block ×4, first 2 shown]
	s_waitcnt vmcnt(0) lgkmcnt(3)
	v_mul_f64 v[104:105], v[38:39], v[102:103]
	v_mul_f64 v[66:67], v[38:39], v[100:101]
	s_clause 0x3
	buffer_load_dword v38, off, s[60:63], 0 offset:160
	buffer_load_dword v39, off, s[60:63], 0 offset:164
	;; [unrolled: 1-line block ×4, first 2 shown]
	v_fma_f64 v[100:101], v[36:37], v[100:101], v[104:105]
	v_fma_f64 v[64:65], v[36:37], v[102:103], -v[66:67]
	v_add_f64 v[56:57], v[4:5], -v[100:101]
	v_fma_f64 v[4:5], v[4:5], 2.0, -v[56:57]
	s_waitcnt vmcnt(0)
	v_mul_f64 v[106:107], v[40:41], v[86:87]
	v_mul_f64 v[70:71], v[40:41], v[84:85]
	s_clause 0xb
	buffer_load_dword v40, off, s[60:63], 0 offset:176
	buffer_load_dword v41, off, s[60:63], 0 offset:180
	;; [unrolled: 1-line block ×12, first 2 shown]
	s_waitcnt vmcnt(0) lgkmcnt(0)
	s_barrier
	buffer_gl0_inv
	v_fma_f64 v[66:67], v[38:39], v[84:85], v[106:107]
	v_fma_f64 v[68:69], v[38:39], v[86:87], -v[70:71]
	v_add_f64 v[60:61], v[8:9], -v[66:67]
	v_fma_f64 v[8:9], v[8:9], 2.0, -v[60:61]
	v_mul_f64 v[108:109], v[42:43], v[90:91]
	v_mul_f64 v[74:75], v[42:43], v[88:89]
	;; [unrolled: 1-line block ×6, first 2 shown]
	v_fma_f64 v[70:71], v[40:41], v[88:89], v[108:109]
	v_fma_f64 v[72:73], v[40:41], v[90:91], -v[74:75]
	v_fma_f64 v[74:75], v[24:25], v[96:97], v[110:111]
	v_fma_f64 v[84:85], v[24:25], v[98:99], -v[58:59]
	;; [unrolled: 2-line block ×3, first 2 shown]
	v_add_f64 v[58:59], v[6:7], -v[64:65]
	v_add_f64 v[62:63], v[10:11], -v[68:69]
	;; [unrolled: 1-line block ×8, first 2 shown]
	v_fma_f64 v[6:7], v[6:7], 2.0, -v[58:59]
	v_fma_f64 v[10:11], v[10:11], 2.0, -v[62:63]
	;; [unrolled: 1-line block ×8, first 2 shown]
	ds_write_b128 v197, v[56:59] offset:272
	ds_write_b128 v197, v[4:7]
	ds_write_b128 v233, v[8:11]
	ds_write_b128 v233, v[60:63] offset:272
	ds_write_b128 v229, v[16:19]
	ds_write_b128 v229, v[64:67] offset:272
	;; [unrolled: 2-line block ×4, first 2 shown]
	s_and_saveexec_b32 s1, s0
	s_cbranch_execz .LBB0_21
; %bb.20:
	buffer_load_dword v8, off, s[60:63], 0 offset:32 ; 4-byte Folded Reload
	v_mul_f64 v[0:1], v[22:23], v[132:133]
	v_mul_f64 v[2:3], v[22:23], v[134:135]
	v_fma_f64 v[0:1], v[20:21], v[134:135], -v[0:1]
	v_fma_f64 v[4:5], v[20:21], v[132:133], v[2:3]
	v_add_f64 v[2:3], v[138:139], -v[0:1]
	v_add_f64 v[0:1], v[136:137], -v[4:5]
	v_fma_f64 v[6:7], v[138:139], 2.0, -v[2:3]
	v_fma_f64 v[4:5], v[136:137], 2.0, -v[0:1]
	s_waitcnt vmcnt(0)
	v_lshl_add_u32 v8, v218, 4, v8
	ds_write_b128 v8, v[4:7] offset:5440
	ds_write_b128 v8, v[0:3] offset:5712
.LBB0_21:
	s_or_b32 exec_lo, exec_lo, s1
	s_waitcnt lgkmcnt(0)
	s_barrier
	buffer_gl0_inv
	ds_read_b128 v[4:7], v255 offset:544
	ds_read_b128 v[0:3], v255
	ds_read_b128 v[8:11], v255 offset:1088
	ds_read_b128 v[12:15], v255 offset:1632
	;; [unrolled: 1-line block ×9, first 2 shown]
	s_clause 0x3
	buffer_load_dword v24, off, s[60:63], 0 offset:96
	buffer_load_dword v25, off, s[60:63], 0 offset:100
	;; [unrolled: 1-line block ×4, first 2 shown]
	s_mov_b32 s2, 0xf8bb580b
	s_mov_b32 s8, 0x8764f0ba
	;; [unrolled: 1-line block ×10, first 2 shown]
	s_waitcnt lgkmcnt(8)
	v_mul_f64 v[88:89], v[30:31], v[10:11]
	v_mul_f64 v[34:35], v[30:31], v[8:9]
	s_waitcnt lgkmcnt(7)
	v_mul_f64 v[30:31], v[245:246], v[12:13]
	s_waitcnt lgkmcnt(6)
	;; [unrolled: 2-line block ×3, first 2 shown]
	v_mul_f64 v[42:43], v[253:254], v[20:21]
	s_mov_b32 s24, 0xbb3a28a1
	s_mov_b32 s28, 0x7f775887
	;; [unrolled: 1-line block ×3, first 2 shown]
	s_waitcnt lgkmcnt(0)
	v_mul_f64 v[86:87], v[78:79], v[72:73]
	s_mov_b32 s36, 0x9bcd5057
	s_mov_b32 s1, 0x3fe14ced
	s_mov_b32 s11, 0xbfed1bb4
	s_mov_b32 s19, 0x3fda9628
	s_mov_b32 s25, 0xbfe82f19
	s_mov_b32 s29, 0xbfe4f49e
	s_mov_b32 s31, 0xbfd207e7
	s_mov_b32 s37, 0xbfeeb42a
	s_mov_b32 s0, s2
	s_mov_b32 s27, 0x3fefac9e
	s_mov_b32 s39, 0x3fd207e7
	s_mov_b32 s26, s20
	s_mov_b32 s38, s30
	v_fma_f64 v[8:9], v[28:29], v[8:9], v[88:89]
	v_fma_f64 v[10:11], v[28:29], v[10:11], -v[34:35]
	s_mov_b32 s17, 0x3fed1bb4
	s_mov_b32 s35, 0x3fe82f19
	;; [unrolled: 1-line block ×4, first 2 shown]
	s_waitcnt vmcnt(0)
	v_mul_f64 v[84:85], v[26:27], v[6:7]
	v_mul_f64 v[54:55], v[26:27], v[4:5]
	v_fma_f64 v[84:85], v[24:25], v[4:5], v[84:85]
	v_fma_f64 v[52:53], v[24:25], v[6:7], -v[54:55]
	s_clause 0x7
	buffer_load_dword v24, off, s[60:63], 0 offset:80
	buffer_load_dword v25, off, s[60:63], 0 offset:84
	;; [unrolled: 1-line block ×8, first 2 shown]
	v_mul_f64 v[6:7], v[78:79], v[74:75]
	v_mul_f64 v[54:55], v[82:83], v[70:71]
	;; [unrolled: 1-line block ×4, first 2 shown]
	v_fma_f64 v[4:5], v[76:77], v[74:75], -v[86:87]
	v_mul_f64 v[86:87], v[249:250], v[58:59]
	v_fma_f64 v[14:15], v[243:244], v[14:15], -v[30:31]
	v_mul_f64 v[74:75], v[253:254], v[22:23]
	v_fma_f64 v[22:23], v[251:252], v[22:23], -v[42:43]
	v_add_f64 v[32:33], v[0:1], v[84:85]
	v_add_f64 v[34:35], v[2:3], v[52:53]
	v_fma_f64 v[6:7], v[76:77], v[72:73], v[6:7]
	v_fma_f64 v[54:55], v[80:81], v[68:69], v[54:55]
	v_fma_f64 v[68:69], v[80:81], v[70:71], -v[78:79]
	v_fma_f64 v[12:13], v[243:244], v[12:13], v[82:83]
	v_add_f64 v[44:45], v[52:53], -v[4:5]
	v_fma_f64 v[40:41], v[247:248], v[56:57], v[86:87]
	v_fma_f64 v[20:21], v[251:252], v[20:21], v[74:75]
	v_add_f64 v[32:33], v[32:33], v[8:9]
	v_add_f64 v[34:35], v[34:35], v[10:11]
	v_add_f64 v[42:43], v[84:85], -v[6:7]
	v_add_f64 v[48:49], v[8:9], v[54:55]
	v_add_f64 v[8:9], v[8:9], -v[54:55]
	v_mul_f64 v[70:71], v[44:45], s[2:3]
	v_mul_f64 v[74:75], v[44:45], s[10:11]
	v_mul_f64 v[78:79], v[44:45], s[24:25]
	s_waitcnt vmcnt(4)
	v_mul_f64 v[90:91], v[26:27], v[66:67]
	v_mul_f64 v[50:51], v[26:27], v[64:65]
	;; [unrolled: 1-line block ×3, first 2 shown]
	s_waitcnt vmcnt(0)
	v_mul_f64 v[94:95], v[38:39], v[62:63]
	v_mul_f64 v[46:47], v[38:39], v[60:61]
	v_mul_f64 v[38:39], v[249:250], v[56:57]
	v_fma_f64 v[16:17], v[239:240], v[16:17], v[92:93]
	v_fma_f64 v[28:29], v[24:25], v[64:65], v[90:91]
	v_fma_f64 v[30:31], v[24:25], v[66:67], -v[50:51]
	v_fma_f64 v[18:19], v[239:240], v[18:19], -v[26:27]
	v_fma_f64 v[24:25], v[36:37], v[60:61], v[94:95]
	v_fma_f64 v[26:27], v[36:37], v[62:63], -v[46:47]
	v_add_f64 v[46:47], v[52:53], v[4:5]
	v_fma_f64 v[36:37], v[247:248], v[58:59], -v[38:39]
	v_add_f64 v[38:39], v[84:85], v[6:7]
	v_add_f64 v[50:51], v[10:11], -v[68:69]
	v_add_f64 v[10:11], v[10:11], v[68:69]
	v_add_f64 v[52:53], v[12:13], v[28:29]
	v_add_f64 v[58:59], v[12:13], -v[28:29]
	v_add_f64 v[12:13], v[32:33], v[12:13]
	;; [unrolled: 3-line block ×3, first 2 shown]
	v_mul_f64 v[72:73], v[46:47], s[8:9]
	v_mul_f64 v[32:33], v[44:45], s[20:21]
	;; [unrolled: 1-line block ×9, first 2 shown]
	v_fma_f64 v[112:113], v[38:39], s[8:9], v[70:71]
	v_mul_f64 v[90:91], v[50:51], s[38:39]
	v_mul_f64 v[92:93], v[10:11], s[36:37]
	;; [unrolled: 1-line block ×8, first 2 shown]
	v_add_f64 v[12:13], v[12:13], v[16:17]
	v_mul_f64 v[100:101], v[56:57], s[22:23]
	v_mul_f64 v[98:99], v[60:61], s[20:21]
	v_add_f64 v[14:15], v[14:15], v[18:19]
	v_fma_f64 v[114:115], v[42:43], s[0:1], v[72:73]
	v_fma_f64 v[120:121], v[38:39], s[22:23], v[32:33]
	;; [unrolled: 1-line block ×3, first 2 shown]
	v_fma_f64 v[32:33], v[38:39], s[22:23], -v[32:33]
	v_fma_f64 v[34:35], v[42:43], s[20:21], v[34:35]
	v_fma_f64 v[70:71], v[38:39], s[8:9], -v[70:71]
	v_fma_f64 v[72:73], v[42:43], s[2:3], v[72:73]
	v_fma_f64 v[116:117], v[38:39], s[18:19], v[74:75]
	v_fma_f64 v[118:119], v[42:43], s[16:17], v[76:77]
	v_fma_f64 v[74:75], v[38:39], s[18:19], -v[74:75]
	v_fma_f64 v[76:77], v[42:43], s[10:11], v[76:77]
	v_fma_f64 v[124:125], v[38:39], s[28:29], v[78:79]
	;; [unrolled: 4-line block ×3, first 2 shown]
	v_fma_f64 v[130:131], v[42:43], s[38:39], v[46:47]
	v_fma_f64 v[38:39], v[38:39], s[36:37], -v[44:45]
	v_add_f64 v[12:13], v[12:13], v[20:21]
	v_fma_f64 v[42:43], v[42:43], s[30:31], v[46:47]
	v_fma_f64 v[44:45], v[48:49], s[18:19], v[82:83]
	v_add_f64 v[14:15], v[14:15], v[22:23]
	v_fma_f64 v[46:47], v[8:9], s[16:17], v[84:85]
	v_add_f64 v[112:113], v[0:1], v[112:113]
	v_add_f64 v[114:115], v[2:3], v[114:115]
	;; [unrolled: 1-line block ×3, first 2 shown]
	v_add_f64 v[66:67], v[18:19], -v[26:27]
	v_mul_f64 v[18:19], v[60:61], s[16:17]
	v_mul_f64 v[106:107], v[56:57], s[18:19]
	v_fma_f64 v[136:137], v[48:49], s[36:37], v[90:91]
	v_fma_f64 v[138:139], v[8:9], s[30:31], v[92:93]
	v_fma_f64 v[90:91], v[48:49], s[36:37], -v[90:91]
	v_fma_f64 v[92:93], v[8:9], s[38:39], v[92:93]
	v_add_f64 v[32:33], v[0:1], v[32:33]
	v_add_f64 v[34:35], v[2:3], v[34:35]
	v_mul_f64 v[108:109], v[60:61], s[2:3]
	v_fma_f64 v[82:83], v[48:49], s[18:19], -v[82:83]
	v_fma_f64 v[84:85], v[8:9], s[10:11], v[84:85]
	v_fma_f64 v[132:133], v[48:49], s[28:29], v[86:87]
	;; [unrolled: 1-line block ×3, first 2 shown]
	v_add_f64 v[12:13], v[12:13], v[40:41]
	v_fma_f64 v[86:87], v[48:49], s[28:29], -v[86:87]
	v_fma_f64 v[88:89], v[8:9], s[24:25], v[88:89]
	v_add_f64 v[14:15], v[14:15], v[36:37]
	v_fma_f64 v[141:142], v[48:49], s[22:23], v[94:95]
	v_fma_f64 v[143:144], v[8:9], s[20:21], v[96:97]
	v_fma_f64 v[94:95], v[48:49], s[22:23], -v[94:95]
	v_fma_f64 v[96:97], v[8:9], s[26:27], v[96:97]
	v_fma_f64 v[145:146], v[48:49], s[8:9], v[50:51]
	;; [unrolled: 1-line block ×3, first 2 shown]
	v_fma_f64 v[48:49], v[48:49], s[8:9], -v[50:51]
	v_fma_f64 v[8:9], v[8:9], s[0:1], v[10:11]
	v_fma_f64 v[10:11], v[52:53], s[22:23], v[98:99]
	v_fma_f64 v[50:51], v[58:59], s[26:27], v[100:101]
	v_add_f64 v[74:75], v[0:1], v[74:75]
	v_add_f64 v[76:77], v[2:3], v[76:77]
	;; [unrolled: 1-line block ×4, first 2 shown]
	v_mul_f64 v[102:103], v[60:61], s[38:39]
	v_mul_f64 v[104:105], v[56:57], s[36:37]
	;; [unrolled: 1-line block ×4, first 2 shown]
	v_add_f64 v[12:13], v[12:13], v[24:25]
	v_fma_f64 v[153:154], v[52:53], s[18:19], v[18:19]
	v_fma_f64 v[155:156], v[58:59], s[10:11], v[106:107]
	v_add_f64 v[14:15], v[14:15], v[26:27]
	v_add_f64 v[26:27], v[0:1], v[70:71]
	;; [unrolled: 1-line block ×15, first 2 shown]
	v_fma_f64 v[18:19], v[52:53], s[18:19], -v[18:19]
	v_fma_f64 v[106:107], v[58:59], s[16:17], v[106:107]
	v_add_f64 v[32:33], v[90:91], v[32:33]
	v_add_f64 v[34:35], v[92:93], v[34:35]
	;; [unrolled: 1-line block ×4, first 2 shown]
	v_mul_f64 v[56:57], v[56:57], s[28:29]
	v_add_f64 v[14:15], v[14:15], v[30:31]
	v_fma_f64 v[98:99], v[52:53], s[22:23], -v[98:99]
	v_add_f64 v[26:27], v[82:83], v[26:27]
	v_add_f64 v[28:29], v[84:85], v[70:71]
	;; [unrolled: 1-line block ×3, first 2 shown]
	v_add_f64 v[16:17], v[16:17], -v[24:25]
	v_mul_f64 v[24:25], v[66:67], s[24:25]
	v_add_f64 v[76:77], v[141:142], v[122:123]
	v_fma_f64 v[100:101], v[58:59], s[20:21], v[100:101]
	v_fma_f64 v[149:150], v[52:53], s[36:37], v[102:103]
	;; [unrolled: 1-line block ×3, first 2 shown]
	v_fma_f64 v[102:103], v[52:53], s[36:37], -v[102:103]
	v_add_f64 v[2:3], v[8:9], v[2:3]
	v_add_f64 v[8:9], v[10:11], v[38:39]
	v_add_f64 v[10:11], v[50:51], v[42:43]
	v_fma_f64 v[42:43], v[52:53], s[8:9], v[108:109]
	v_mul_f64 v[38:39], v[64:65], s[28:29]
	v_add_f64 v[30:31], v[132:133], v[72:73]
	v_add_f64 v[44:45], v[134:135], v[116:117]
	;; [unrolled: 1-line block ×6, first 2 shown]
	v_fma_f64 v[48:49], v[58:59], s[0:1], v[110:111]
	v_mul_f64 v[50:51], v[66:67], s[26:27]
	v_mul_f64 v[54:55], v[64:65], s[22:23]
	v_fma_f64 v[104:105], v[58:59], s[38:39], v[104:105]
	v_add_f64 v[78:79], v[94:95], v[78:79]
	v_add_f64 v[80:81], v[96:97], v[80:81]
	;; [unrolled: 1-line block ×3, first 2 shown]
	v_fma_f64 v[68:69], v[52:53], s[8:9], -v[108:109]
	v_fma_f64 v[88:89], v[58:59], s[2:3], v[110:111]
	v_add_f64 v[18:19], v[18:19], v[32:33]
	v_add_f64 v[32:33], v[106:107], v[34:35]
	v_fma_f64 v[34:35], v[52:53], s[28:29], -v[60:61]
	v_add_f64 v[72:73], v[136:137], v[118:119]
	v_fma_f64 v[90:91], v[52:53], s[28:29], v[60:61]
	v_mul_f64 v[60:61], v[66:67], s[2:3]
	v_add_f64 v[74:75], v[138:139], v[120:121]
	v_add_f64 v[26:27], v[98:99], v[26:27]
	v_fma_f64 v[92:93], v[58:59], s[34:35], v[56:57]
	v_fma_f64 v[52:53], v[58:59], s[24:25], v[56:57]
	v_fma_f64 v[56:57], v[62:63], s[28:29], v[24:25]
	v_add_f64 v[42:43], v[42:43], v[76:77]
	v_fma_f64 v[24:25], v[62:63], s[28:29], -v[24:25]
	v_mul_f64 v[76:77], v[64:65], s[8:9]
	v_add_f64 v[28:29], v[100:101], v[28:29]
	v_fma_f64 v[58:59], v[16:17], s[34:35], v[38:39]
	v_fma_f64 v[38:39], v[16:17], s[24:25], v[38:39]
	v_add_f64 v[30:31], v[149:150], v[30:31]
	v_add_f64 v[44:45], v[151:152], v[44:45]
	;; [unrolled: 1-line block ×4, first 2 shown]
	v_fma_f64 v[82:83], v[62:63], s[22:23], v[50:51]
	v_fma_f64 v[94:95], v[16:17], s[20:21], v[54:55]
	v_fma_f64 v[50:51], v[62:63], s[22:23], -v[50:51]
	v_add_f64 v[70:71], v[104:105], v[70:71]
	v_add_f64 v[68:69], v[68:69], v[78:79]
	v_fma_f64 v[54:55], v[16:17], s[26:27], v[54:55]
	v_add_f64 v[78:79], v[88:89], v[80:81]
	v_mul_f64 v[80:81], v[66:67], s[30:31]
	v_mul_f64 v[88:89], v[64:65], s[36:37]
	;; [unrolled: 1-line block ×4, first 2 shown]
	v_add_f64 v[0:1], v[34:35], v[0:1]
	v_add_f64 v[34:35], v[22:23], -v[36:37]
	v_add_f64 v[22:23], v[22:23], v[36:37]
	v_add_f64 v[84:85], v[145:146], v[126:127]
	;; [unrolled: 1-line block ×4, first 2 shown]
	v_fma_f64 v[36:37], v[62:63], s[8:9], v[60:61]
	v_add_f64 v[74:75], v[155:156], v[74:75]
	v_add_f64 v[24:25], v[24:25], v[26:27]
	v_fma_f64 v[26:27], v[16:17], s[0:1], v[76:77]
	v_add_f64 v[2:3], v[52:53], v[2:3]
	v_add_f64 v[52:53], v[38:39], v[28:29]
	v_fma_f64 v[38:39], v[62:63], s[8:9], -v[60:61]
	v_add_f64 v[28:29], v[82:83], v[30:31]
	v_add_f64 v[30:31], v[94:95], v[44:45]
	;; [unrolled: 1-line block ×3, first 2 shown]
	v_fma_f64 v[50:51], v[16:17], s[2:3], v[76:77]
	v_add_f64 v[8:9], v[56:57], v[8:9]
	v_add_f64 v[10:11], v[58:59], v[10:11]
	;; [unrolled: 1-line block ×3, first 2 shown]
	v_fma_f64 v[54:55], v[62:63], s[36:37], v[80:81]
	v_fma_f64 v[56:57], v[16:17], s[38:39], v[88:89]
	v_fma_f64 v[58:59], v[62:63], s[36:37], -v[80:81]
	v_fma_f64 v[60:61], v[16:17], s[30:31], v[88:89]
	v_fma_f64 v[70:71], v[62:63], s[18:19], v[66:67]
	;; [unrolled: 1-line block ×3, first 2 shown]
	v_fma_f64 v[62:63], v[62:63], s[18:19], -v[66:67]
	v_fma_f64 v[16:17], v[16:17], s[16:17], v[64:65]
	v_add_f64 v[64:65], v[20:21], v[40:41]
	v_add_f64 v[20:21], v[20:21], -v[40:41]
	v_mul_f64 v[40:41], v[34:35], s[30:31]
	v_mul_f64 v[66:67], v[22:23], s[36:37]
	v_add_f64 v[84:85], v[90:91], v[84:85]
	v_add_f64 v[86:87], v[92:93], v[86:87]
	;; [unrolled: 1-line block ×3, first 2 shown]
	v_mul_f64 v[72:73], v[34:35], s[0:1]
	v_mul_f64 v[80:81], v[22:23], s[8:9]
	v_add_f64 v[26:27], v[26:27], v[74:75]
	v_mul_f64 v[74:75], v[34:35], s[24:25]
	v_mul_f64 v[82:83], v[22:23], s[28:29]
	v_add_f64 v[18:19], v[38:39], v[18:19]
	;; [unrolled: 3-line block ×4, first 2 shown]
	v_add_f64 v[42:43], v[56:57], v[48:49]
	v_add_f64 v[48:49], v[58:59], v[68:69]
	;; [unrolled: 1-line block ×5, first 2 shown]
	v_fma_f64 v[16:17], v[64:65], s[36:37], v[40:41]
	v_fma_f64 v[68:69], v[20:21], s[38:39], v[66:67]
	v_add_f64 v[56:57], v[70:71], v[84:85]
	v_add_f64 v[58:59], v[76:77], v[86:87]
	v_fma_f64 v[40:41], v[64:65], s[36:37], -v[40:41]
	v_fma_f64 v[70:71], v[64:65], s[8:9], v[72:73]
	v_fma_f64 v[76:77], v[20:21], s[2:3], v[80:81]
	v_fma_f64 v[72:73], v[64:65], s[8:9], -v[72:73]
	v_fma_f64 v[78:79], v[64:65], s[28:29], v[74:75]
	v_fma_f64 v[84:85], v[20:21], s[34:35], v[82:83]
	;; [unrolled: 3-line block ×5, first 2 shown]
	v_fma_f64 v[82:83], v[20:21], s[24:25], v[82:83]
	v_fma_f64 v[80:81], v[20:21], s[0:1], v[80:81]
	v_fma_f64 v[66:67], v[20:21], s[30:31], v[66:67]
	v_add_f64 v[0:1], v[12:13], v[6:7]
	v_add_f64 v[2:3], v[14:15], v[4:5]
	v_add_f64 v[4:5], v[16:17], v[8:9]
	v_add_f64 v[6:7], v[68:69], v[10:11]
	v_add_f64 v[8:9], v[40:41], v[24:25]
	v_add_f64 v[12:13], v[70:71], v[28:29]
	v_add_f64 v[14:15], v[76:77], v[30:31]
	v_add_f64 v[16:17], v[72:73], v[44:45]
	v_add_f64 v[20:21], v[78:79], v[36:37]
	v_add_f64 v[22:23], v[84:85], v[26:27]
	v_add_f64 v[24:25], v[74:75], v[18:19]
	v_add_f64 v[28:29], v[86:87], v[34:35]
	v_add_f64 v[30:31], v[90:91], v[42:43]
	v_add_f64 v[32:33], v[38:39], v[48:49]
	v_add_f64 v[36:37], v[92:93], v[56:57]
	v_add_f64 v[38:39], v[94:95], v[58:59]
	v_add_f64 v[40:41], v[64:65], v[60:61]
	v_add_f64 v[42:43], v[96:97], v[62:63]
	v_add_f64 v[34:35], v[88:89], v[54:55]
	v_add_f64 v[26:27], v[82:83], v[50:51]
	v_add_f64 v[18:19], v[80:81], v[46:47]
	v_add_f64 v[10:11], v[66:67], v[52:53]
	ds_write_b128 v217, v[0:3]
	ds_write_b128 v217, v[4:7] offset:544
	ds_write_b128 v217, v[12:15] offset:1088
	;; [unrolled: 1-line block ×10, first 2 shown]
	s_waitcnt lgkmcnt(0)
	s_barrier
	buffer_gl0_inv
	s_clause 0x1
	buffer_load_dword v16, off, s[60:63], 0 offset:52
	buffer_load_dword v17, off, s[60:63], 0 offset:56
	s_and_b32 s0, exec_lo, vcc_lo
	s_mov_b32 exec_lo, s0
	s_cbranch_execz .LBB0_23
; %bb.22:
	v_lshlrev_b32_e32 v18, 4, v222
	s_waitcnt vmcnt(1)
	v_mad_u64_u32 v[14:15], null, s6, v16, 0
	s_mov_b32 s0, 0xb8d015e7
	s_mov_b32 s1, 0x3f65e75b
	global_load_dwordx4 v[0:3], v18, s[12:13]
	ds_read_b128 v[4:7], v217
	ds_read_b128 v[8:11], v217 offset:352
	s_mul_i32 s2, s5, 0x160
	s_mul_hi_u32 s6, s4, 0x160
	s_mul_i32 s3, s4, 0x160
	s_add_i32 s2, s6, s2
	v_add_co_u32 v20, s6, s12, v18
	v_add_co_ci_u32_e64 v21, null, s13, 0, s6
	s_waitcnt vmcnt(0) lgkmcnt(1)
	v_mul_f64 v[12:13], v[6:7], v[2:3]
	v_mul_f64 v[2:3], v[4:5], v[2:3]
	v_fma_f64 v[4:5], v[4:5], v[0:1], v[12:13]
	v_fma_f64 v[0:1], v[0:1], v[6:7], -v[2:3]
	v_mad_u64_u32 v[6:7], null, s4, v222, 0
	v_mov_b32_e32 v2, v15
	v_mov_b32_e32 v3, v7
	v_mad_u64_u32 v[12:13], null, s7, v16, v[2:3]
	v_mad_u64_u32 v[16:17], null, s5, v222, v[3:4]
	v_mov_b32_e32 v15, v12
	v_mul_f64 v[2:3], v[4:5], s[0:1]
	v_mul_f64 v[4:5], v[0:1], s[0:1]
	v_lshlrev_b64 v[0:1], 4, v[14:15]
	v_mov_b32_e32 v7, v16
	v_add_co_u32 v0, vcc_lo, s14, v0
	v_lshlrev_b64 v[6:7], 4, v[6:7]
	v_add_co_ci_u32_e32 v1, vcc_lo, s15, v1, vcc_lo
	v_add_co_u32 v6, vcc_lo, v0, v6
	v_add_co_ci_u32_e32 v7, vcc_lo, v1, v7, vcc_lo
	v_add_co_u32 v14, vcc_lo, v6, s3
	global_store_dwordx4 v[6:7], v[2:5], off
	global_load_dwordx4 v[2:5], v18, s[12:13] offset:352
	v_add_co_ci_u32_e32 v15, vcc_lo, s2, v7, vcc_lo
	s_waitcnt vmcnt(0) lgkmcnt(0)
	v_mul_f64 v[12:13], v[10:11], v[4:5]
	v_mul_f64 v[4:5], v[8:9], v[4:5]
	v_fma_f64 v[8:9], v[8:9], v[2:3], v[12:13]
	v_fma_f64 v[4:5], v[2:3], v[10:11], -v[4:5]
	v_mul_f64 v[2:3], v[8:9], s[0:1]
	v_mul_f64 v[4:5], v[4:5], s[0:1]
	global_store_dwordx4 v[14:15], v[2:5], off
	global_load_dwordx4 v[2:5], v18, s[12:13] offset:704
	ds_read_b128 v[6:9], v217 offset:704
	ds_read_b128 v[10:13], v217 offset:1056
	s_waitcnt vmcnt(0) lgkmcnt(1)
	v_mul_f64 v[16:17], v[8:9], v[4:5]
	v_mul_f64 v[4:5], v[6:7], v[4:5]
	v_fma_f64 v[6:7], v[6:7], v[2:3], v[16:17]
	v_fma_f64 v[4:5], v[2:3], v[8:9], -v[4:5]
	v_mul_f64 v[2:3], v[6:7], s[0:1]
	v_mul_f64 v[4:5], v[4:5], s[0:1]
	v_add_co_u32 v6, vcc_lo, v14, s3
	v_add_co_ci_u32_e32 v7, vcc_lo, s2, v15, vcc_lo
	v_add_co_u32 v14, vcc_lo, v6, s3
	v_add_co_ci_u32_e32 v15, vcc_lo, s2, v7, vcc_lo
	global_store_dwordx4 v[6:7], v[2:5], off
	global_load_dwordx4 v[2:5], v18, s[12:13] offset:1056
	s_waitcnt vmcnt(0) lgkmcnt(0)
	v_mul_f64 v[8:9], v[12:13], v[4:5]
	v_mul_f64 v[4:5], v[10:11], v[4:5]
	v_fma_f64 v[8:9], v[10:11], v[2:3], v[8:9]
	v_fma_f64 v[4:5], v[2:3], v[12:13], -v[4:5]
	v_mul_f64 v[2:3], v[8:9], s[0:1]
	v_mul_f64 v[4:5], v[4:5], s[0:1]
	global_store_dwordx4 v[14:15], v[2:5], off
	global_load_dwordx4 v[2:5], v18, s[12:13] offset:1408
	ds_read_b128 v[6:9], v217 offset:1408
	ds_read_b128 v[10:13], v217 offset:1760
	s_waitcnt vmcnt(0) lgkmcnt(1)
	v_mul_f64 v[16:17], v[8:9], v[4:5]
	v_mul_f64 v[4:5], v[6:7], v[4:5]
	v_fma_f64 v[6:7], v[6:7], v[2:3], v[16:17]
	v_fma_f64 v[4:5], v[2:3], v[8:9], -v[4:5]
	v_mul_f64 v[2:3], v[6:7], s[0:1]
	v_mul_f64 v[4:5], v[4:5], s[0:1]
	v_add_co_u32 v6, vcc_lo, v14, s3
	v_add_co_ci_u32_e32 v7, vcc_lo, s2, v15, vcc_lo
	v_add_co_u32 v14, vcc_lo, v6, s3
	v_add_co_ci_u32_e32 v15, vcc_lo, s2, v7, vcc_lo
	v_add_co_u32 v16, vcc_lo, 0x800, v20
	v_add_co_ci_u32_e32 v17, vcc_lo, 0, v21, vcc_lo
	global_store_dwordx4 v[6:7], v[2:5], off
	global_load_dwordx4 v[2:5], v18, s[12:13] offset:1760
	s_waitcnt vmcnt(0) lgkmcnt(0)
	v_mul_f64 v[8:9], v[12:13], v[4:5]
	v_mul_f64 v[4:5], v[10:11], v[4:5]
	v_fma_f64 v[8:9], v[10:11], v[2:3], v[8:9]
	v_fma_f64 v[4:5], v[2:3], v[12:13], -v[4:5]
	v_mul_f64 v[2:3], v[8:9], s[0:1]
	v_mul_f64 v[4:5], v[4:5], s[0:1]
	global_store_dwordx4 v[14:15], v[2:5], off
	global_load_dwordx4 v[2:5], v[16:17], off offset:64
	ds_read_b128 v[6:9], v217 offset:2112
	ds_read_b128 v[10:13], v217 offset:2464
	s_waitcnt vmcnt(0) lgkmcnt(1)
	v_mul_f64 v[18:19], v[8:9], v[4:5]
	v_mul_f64 v[4:5], v[6:7], v[4:5]
	v_fma_f64 v[6:7], v[6:7], v[2:3], v[18:19]
	v_fma_f64 v[4:5], v[2:3], v[8:9], -v[4:5]
	v_mul_f64 v[2:3], v[6:7], s[0:1]
	v_mul_f64 v[4:5], v[4:5], s[0:1]
	v_add_co_u32 v6, vcc_lo, v14, s3
	v_add_co_ci_u32_e32 v7, vcc_lo, s2, v15, vcc_lo
	v_add_co_u32 v14, vcc_lo, v6, s3
	v_add_co_ci_u32_e32 v15, vcc_lo, s2, v7, vcc_lo
	global_store_dwordx4 v[6:7], v[2:5], off
	global_load_dwordx4 v[2:5], v[16:17], off offset:416
	s_waitcnt vmcnt(0) lgkmcnt(0)
	v_mul_f64 v[8:9], v[12:13], v[4:5]
	v_mul_f64 v[4:5], v[10:11], v[4:5]
	v_fma_f64 v[8:9], v[10:11], v[2:3], v[8:9]
	v_fma_f64 v[4:5], v[2:3], v[12:13], -v[4:5]
	v_mul_f64 v[2:3], v[8:9], s[0:1]
	v_mul_f64 v[4:5], v[4:5], s[0:1]
	global_store_dwordx4 v[14:15], v[2:5], off
	global_load_dwordx4 v[2:5], v[16:17], off offset:768
	ds_read_b128 v[6:9], v217 offset:2816
	ds_read_b128 v[10:13], v217 offset:3168
	s_waitcnt vmcnt(0) lgkmcnt(1)
	v_mul_f64 v[18:19], v[8:9], v[4:5]
	v_mul_f64 v[4:5], v[6:7], v[4:5]
	v_fma_f64 v[6:7], v[6:7], v[2:3], v[18:19]
	v_fma_f64 v[4:5], v[2:3], v[8:9], -v[4:5]
	v_mul_f64 v[2:3], v[6:7], s[0:1]
	v_mul_f64 v[4:5], v[4:5], s[0:1]
	v_add_co_u32 v6, vcc_lo, v14, s3
	v_add_co_ci_u32_e32 v7, vcc_lo, s2, v15, vcc_lo
	v_add_co_u32 v14, vcc_lo, v6, s3
	v_add_co_ci_u32_e32 v15, vcc_lo, s2, v7, vcc_lo
	global_store_dwordx4 v[6:7], v[2:5], off
	global_load_dwordx4 v[2:5], v[16:17], off offset:1120
	;; [unrolled: 24-line block ×3, first 2 shown]
	v_add_co_u32 v16, vcc_lo, 0x1000, v20
	v_add_co_ci_u32_e32 v17, vcc_lo, 0, v21, vcc_lo
	s_waitcnt vmcnt(0) lgkmcnt(0)
	v_mul_f64 v[8:9], v[12:13], v[4:5]
	v_mul_f64 v[4:5], v[10:11], v[4:5]
	v_fma_f64 v[8:9], v[10:11], v[2:3], v[8:9]
	v_fma_f64 v[4:5], v[2:3], v[12:13], -v[4:5]
	v_mul_f64 v[2:3], v[8:9], s[0:1]
	v_mul_f64 v[4:5], v[4:5], s[0:1]
	global_store_dwordx4 v[14:15], v[2:5], off
	global_load_dwordx4 v[2:5], v[16:17], off offset:128
	ds_read_b128 v[6:9], v217 offset:4224
	ds_read_b128 v[10:13], v217 offset:4576
	s_waitcnt vmcnt(0) lgkmcnt(1)
	v_mul_f64 v[18:19], v[8:9], v[4:5]
	v_mul_f64 v[4:5], v[6:7], v[4:5]
	v_fma_f64 v[6:7], v[6:7], v[2:3], v[18:19]
	v_fma_f64 v[4:5], v[2:3], v[8:9], -v[4:5]
	v_mul_f64 v[2:3], v[6:7], s[0:1]
	v_mul_f64 v[4:5], v[4:5], s[0:1]
	v_add_co_u32 v6, vcc_lo, v14, s3
	v_add_co_ci_u32_e32 v7, vcc_lo, s2, v15, vcc_lo
	v_add_co_u32 v14, vcc_lo, v6, s3
	v_add_co_ci_u32_e32 v15, vcc_lo, s2, v7, vcc_lo
	global_store_dwordx4 v[6:7], v[2:5], off
	global_load_dwordx4 v[2:5], v[16:17], off offset:480
	s_waitcnt vmcnt(0) lgkmcnt(0)
	v_mul_f64 v[8:9], v[12:13], v[4:5]
	v_mul_f64 v[4:5], v[10:11], v[4:5]
	v_fma_f64 v[8:9], v[10:11], v[2:3], v[8:9]
	v_fma_f64 v[4:5], v[2:3], v[12:13], -v[4:5]
	v_mul_f64 v[2:3], v[8:9], s[0:1]
	v_mul_f64 v[4:5], v[4:5], s[0:1]
	global_store_dwordx4 v[14:15], v[2:5], off
	global_load_dwordx4 v[2:5], v[16:17], off offset:832
	ds_read_b128 v[6:9], v217 offset:4928
	ds_read_b128 v[10:13], v217 offset:5280
	s_waitcnt vmcnt(0) lgkmcnt(1)
	v_mul_f64 v[18:19], v[8:9], v[4:5]
	v_mul_f64 v[4:5], v[6:7], v[4:5]
	v_fma_f64 v[6:7], v[6:7], v[2:3], v[18:19]
	v_fma_f64 v[4:5], v[2:3], v[8:9], -v[4:5]
	v_mul_f64 v[2:3], v[6:7], s[0:1]
	v_mul_f64 v[4:5], v[4:5], s[0:1]
	v_add_co_u32 v6, vcc_lo, v14, s3
	v_add_co_ci_u32_e32 v7, vcc_lo, s2, v15, vcc_lo
	global_store_dwordx4 v[6:7], v[2:5], off
	global_load_dwordx4 v[2:5], v[16:17], off offset:1184
	v_add_co_u32 v6, vcc_lo, v6, s3
	v_add_co_ci_u32_e32 v7, vcc_lo, s2, v7, vcc_lo
	s_waitcnt vmcnt(0) lgkmcnt(0)
	v_mul_f64 v[8:9], v[12:13], v[4:5]
	v_mul_f64 v[4:5], v[10:11], v[4:5]
	v_fma_f64 v[8:9], v[10:11], v[2:3], v[8:9]
	v_fma_f64 v[4:5], v[2:3], v[12:13], -v[4:5]
	buffer_load_dword v12, off, s[60:63], 0 offset:192 ; 4-byte Folded Reload
	v_mul_f64 v[2:3], v[8:9], s[0:1]
	v_mul_f64 v[4:5], v[4:5], s[0:1]
	global_store_dwordx4 v[6:7], v[2:5], off
	s_waitcnt vmcnt(0)
	v_lshlrev_b32_e32 v8, 4, v12
	global_load_dwordx4 v[2:5], v8, s[12:13]
	ds_read_b128 v[6:9], v217 offset:5632
	s_waitcnt vmcnt(0) lgkmcnt(0)
	v_mul_f64 v[10:11], v[8:9], v[4:5]
	v_mul_f64 v[4:5], v[6:7], v[4:5]
	v_fma_f64 v[6:7], v[6:7], v[2:3], v[10:11]
	v_fma_f64 v[4:5], v[2:3], v[8:9], -v[4:5]
	v_mad_u64_u32 v[8:9], null, s4, v12, 0
	v_mov_b32_e32 v2, v9
	v_mad_u64_u32 v[9:10], null, s5, v12, v[2:3]
	v_mul_f64 v[2:3], v[6:7], s[0:1]
	v_mul_f64 v[4:5], v[4:5], s[0:1]
	v_lshlrev_b64 v[6:7], 4, v[8:9]
	v_add_co_u32 v0, vcc_lo, v0, v6
	v_add_co_ci_u32_e32 v1, vcc_lo, v1, v7, vcc_lo
	global_store_dwordx4 v[0:1], v[2:5], off
.LBB0_23:
	s_endpgm
	.section	.rodata,"a",@progbits
	.p2align	6, 0x0
	.amdhsa_kernel bluestein_single_back_len374_dim1_dp_op_CI_CI
		.amdhsa_group_segment_fixed_size 41888
		.amdhsa_private_segment_fixed_size 648
		.amdhsa_kernarg_size 104
		.amdhsa_user_sgpr_count 6
		.amdhsa_user_sgpr_private_segment_buffer 1
		.amdhsa_user_sgpr_dispatch_ptr 0
		.amdhsa_user_sgpr_queue_ptr 0
		.amdhsa_user_sgpr_kernarg_segment_ptr 1
		.amdhsa_user_sgpr_dispatch_id 0
		.amdhsa_user_sgpr_flat_scratch_init 0
		.amdhsa_user_sgpr_private_segment_size 0
		.amdhsa_wavefront_size32 1
		.amdhsa_uses_dynamic_stack 0
		.amdhsa_system_sgpr_private_segment_wavefront_offset 1
		.amdhsa_system_sgpr_workgroup_id_x 1
		.amdhsa_system_sgpr_workgroup_id_y 0
		.amdhsa_system_sgpr_workgroup_id_z 0
		.amdhsa_system_sgpr_workgroup_info 0
		.amdhsa_system_vgpr_workitem_id 0
		.amdhsa_next_free_vgpr 256
		.amdhsa_next_free_sgpr 64
		.amdhsa_reserve_vcc 1
		.amdhsa_reserve_flat_scratch 0
		.amdhsa_float_round_mode_32 0
		.amdhsa_float_round_mode_16_64 0
		.amdhsa_float_denorm_mode_32 3
		.amdhsa_float_denorm_mode_16_64 3
		.amdhsa_dx10_clamp 1
		.amdhsa_ieee_mode 1
		.amdhsa_fp16_overflow 0
		.amdhsa_workgroup_processor_mode 1
		.amdhsa_memory_ordered 1
		.amdhsa_forward_progress 0
		.amdhsa_shared_vgpr_count 0
		.amdhsa_exception_fp_ieee_invalid_op 0
		.amdhsa_exception_fp_denorm_src 0
		.amdhsa_exception_fp_ieee_div_zero 0
		.amdhsa_exception_fp_ieee_overflow 0
		.amdhsa_exception_fp_ieee_underflow 0
		.amdhsa_exception_fp_ieee_inexact 0
		.amdhsa_exception_int_div_zero 0
	.end_amdhsa_kernel
	.text
.Lfunc_end0:
	.size	bluestein_single_back_len374_dim1_dp_op_CI_CI, .Lfunc_end0-bluestein_single_back_len374_dim1_dp_op_CI_CI
                                        ; -- End function
	.section	.AMDGPU.csdata,"",@progbits
; Kernel info:
; codeLenInByte = 30756
; NumSgprs: 66
; NumVgprs: 256
; ScratchSize: 648
; MemoryBound: 0
; FloatMode: 240
; IeeeMode: 1
; LDSByteSize: 41888 bytes/workgroup (compile time only)
; SGPRBlocks: 8
; VGPRBlocks: 31
; NumSGPRsForWavesPerEU: 66
; NumVGPRsForWavesPerEU: 256
; Occupancy: 4
; WaveLimiterHint : 1
; COMPUTE_PGM_RSRC2:SCRATCH_EN: 1
; COMPUTE_PGM_RSRC2:USER_SGPR: 6
; COMPUTE_PGM_RSRC2:TRAP_HANDLER: 0
; COMPUTE_PGM_RSRC2:TGID_X_EN: 1
; COMPUTE_PGM_RSRC2:TGID_Y_EN: 0
; COMPUTE_PGM_RSRC2:TGID_Z_EN: 0
; COMPUTE_PGM_RSRC2:TIDIG_COMP_CNT: 0
	.text
	.p2alignl 6, 3214868480
	.fill 48, 4, 3214868480
	.type	__hip_cuid_26c9f94ad5c1e8e5,@object ; @__hip_cuid_26c9f94ad5c1e8e5
	.section	.bss,"aw",@nobits
	.globl	__hip_cuid_26c9f94ad5c1e8e5
__hip_cuid_26c9f94ad5c1e8e5:
	.byte	0                               ; 0x0
	.size	__hip_cuid_26c9f94ad5c1e8e5, 1

	.ident	"AMD clang version 19.0.0git (https://github.com/RadeonOpenCompute/llvm-project roc-6.4.0 25133 c7fe45cf4b819c5991fe208aaa96edf142730f1d)"
	.section	".note.GNU-stack","",@progbits
	.addrsig
	.addrsig_sym __hip_cuid_26c9f94ad5c1e8e5
	.amdgpu_metadata
---
amdhsa.kernels:
  - .args:
      - .actual_access:  read_only
        .address_space:  global
        .offset:         0
        .size:           8
        .value_kind:     global_buffer
      - .actual_access:  read_only
        .address_space:  global
        .offset:         8
        .size:           8
        .value_kind:     global_buffer
      - .actual_access:  read_only
        .address_space:  global
        .offset:         16
        .size:           8
        .value_kind:     global_buffer
      - .actual_access:  read_only
        .address_space:  global
        .offset:         24
        .size:           8
        .value_kind:     global_buffer
      - .actual_access:  read_only
        .address_space:  global
        .offset:         32
        .size:           8
        .value_kind:     global_buffer
      - .offset:         40
        .size:           8
        .value_kind:     by_value
      - .address_space:  global
        .offset:         48
        .size:           8
        .value_kind:     global_buffer
      - .address_space:  global
        .offset:         56
        .size:           8
        .value_kind:     global_buffer
      - .address_space:  global
        .offset:         64
        .size:           8
        .value_kind:     global_buffer
      - .address_space:  global
        .offset:         72
        .size:           8
        .value_kind:     global_buffer
      - .offset:         80
        .size:           4
        .value_kind:     by_value
      - .address_space:  global
        .offset:         88
        .size:           8
        .value_kind:     global_buffer
      - .address_space:  global
        .offset:         96
        .size:           8
        .value_kind:     global_buffer
    .group_segment_fixed_size: 41888
    .kernarg_segment_align: 8
    .kernarg_segment_size: 104
    .language:       OpenCL C
    .language_version:
      - 2
      - 0
    .max_flat_workgroup_size: 238
    .name:           bluestein_single_back_len374_dim1_dp_op_CI_CI
    .private_segment_fixed_size: 648
    .sgpr_count:     66
    .sgpr_spill_count: 0
    .symbol:         bluestein_single_back_len374_dim1_dp_op_CI_CI.kd
    .uniform_work_group_size: 1
    .uses_dynamic_stack: false
    .vgpr_count:     256
    .vgpr_spill_count: 195
    .wavefront_size: 32
    .workgroup_processor_mode: 1
amdhsa.target:   amdgcn-amd-amdhsa--gfx1030
amdhsa.version:
  - 1
  - 2
...

	.end_amdgpu_metadata
